;; amdgpu-corpus repo=ROCm/rocFFT kind=compiled arch=gfx950 opt=O3
	.text
	.amdgcn_target "amdgcn-amd-amdhsa--gfx950"
	.amdhsa_code_object_version 6
	.protected	bluestein_single_fwd_len850_dim1_sp_op_CI_CI ; -- Begin function bluestein_single_fwd_len850_dim1_sp_op_CI_CI
	.globl	bluestein_single_fwd_len850_dim1_sp_op_CI_CI
	.p2align	8
	.type	bluestein_single_fwd_len850_dim1_sp_op_CI_CI,@function
bluestein_single_fwd_len850_dim1_sp_op_CI_CI: ; @bluestein_single_fwd_len850_dim1_sp_op_CI_CI
; %bb.0:
	s_load_dwordx4 s[12:15], s[0:1], 0x28
	v_mul_u32_u24_e32 v1, 0x304, v0
	v_add_u32_sdwa v8, s2, v1 dst_sel:DWORD dst_unused:UNUSED_PAD src0_sel:DWORD src1_sel:WORD_1
	v_mov_b32_e32 v9, 0
	s_waitcnt lgkmcnt(0)
	v_cmp_gt_u64_e32 vcc, s[12:13], v[8:9]
	s_and_saveexec_b64 s[2:3], vcc
	s_cbranch_execz .LBB0_10
; %bb.1:
	s_load_dwordx4 s[4:7], s[0:1], 0x18
	s_load_dwordx4 s[8:11], s[0:1], 0x0
	v_mov_b32_e32 v2, s14
	v_mov_b32_e32 v3, s15
	s_movk_i32 s2, 0x55
	s_waitcnt lgkmcnt(0)
	s_load_dwordx4 s[12:15], s[4:5], 0x0
	v_mul_lo_u16_sdwa v1, v1, s2 dst_sel:DWORD dst_unused:UNUSED_PAD src0_sel:WORD_1 src1_sel:DWORD
	v_sub_u16_e32 v82, v0, v1
	v_mov_b32_e32 v16, 0x2a8
	v_lshlrev_b32_e32 v80, 3, v82
	s_waitcnt lgkmcnt(0)
	v_mad_u64_u32 v[0:1], s[2:3], s14, v8, 0
	v_mov_b32_e32 v4, v1
	v_mad_u64_u32 v[4:5], s[2:3], s15, v8, v[4:5]
	v_mov_b32_e32 v1, v4
	v_mad_u64_u32 v[4:5], s[2:3], s12, v82, 0
	v_mov_b32_e32 v6, v5
	v_mad_u64_u32 v[6:7], s[2:3], s13, v82, v[6:7]
	v_mov_b32_e32 v5, v6
	v_lshl_add_u64 v[0:1], v[0:1], 3, v[2:3]
	v_lshl_add_u64 v[0:1], v[4:5], 3, v[0:1]
	global_load_dwordx2 v[2:3], v[0:1], off
	v_mad_u64_u32 v[0:1], s[2:3], s12, v16, v[0:1]
	s_mul_i32 s4, s13, 0x2a8
	v_add_u32_e32 v1, s4, v1
	v_mad_u64_u32 v[6:7], s[2:3], s12, v16, v[0:1]
	v_add_u32_e32 v7, s4, v7
	v_mov_b64_e32 v[4:5], v[8:9]
	v_mad_u64_u32 v[8:9], s[2:3], s12, v16, v[6:7]
	v_add_u32_e32 v9, s4, v9
	global_load_dwordx2 v[44:45], v80, s[8:9]
	global_load_dwordx2 v[42:43], v80, s[8:9] offset:680
	global_load_dwordx2 v[38:39], v80, s[8:9] offset:1360
	;; [unrolled: 1-line block ×3, first 2 shown]
	global_load_dwordx2 v[10:11], v[0:1], off
	v_mad_u64_u32 v[0:1], s[2:3], s12, v16, v[8:9]
	v_add_u32_e32 v1, s4, v1
	global_load_dwordx2 v[12:13], v[6:7], off
	global_load_dwordx2 v[14:15], v[8:9], off
	;; [unrolled: 1-line block ×3, first 2 shown]
	v_mad_u64_u32 v[0:1], s[2:3], s12, v16, v[0:1]
	v_add_u32_e32 v1, s4, v1
	global_load_dwordx2 v[6:7], v[0:1], off
	v_mad_u64_u32 v[0:1], s[2:3], s12, v16, v[0:1]
	v_add_u32_e32 v1, s4, v1
	v_mov_b32_e32 v81, v5
	global_load_dwordx2 v[40:41], v80, s[8:9] offset:2720
	global_load_dwordx2 v[8:9], v[0:1], off
	global_load_dwordx2 v[36:37], v80, s[8:9] offset:3400
	global_load_dwordx2 v[30:31], v80, s[8:9] offset:4080
	v_mad_u64_u32 v[0:1], s[2:3], s12, v16, v[0:1]
	v_accvgpr_write_b32 a8, v4
	v_lshl_add_u64 v[4:5], s[8:9], 0, v[80:81]
	s_movk_i32 s2, 0x1000
	v_add_u32_e32 v1, s4, v1
	v_add_co_u32_e32 v4, vcc, s2, v4
	global_load_dwordx2 v[20:21], v[0:1], off
	s_nop 0
	v_addc_co_u32_e32 v5, vcc, 0, v5, vcc
	v_mad_u64_u32 v[0:1], s[2:3], s12, v16, v[0:1]
	global_load_dwordx2 v[32:33], v[4:5], off offset:664
	v_add_u32_e32 v1, s4, v1
	global_load_dwordx2 v[22:23], v[0:1], off
	global_load_dwordx2 v[28:29], v[4:5], off offset:1344
	v_mad_u64_u32 v[0:1], s[2:3], s12, v16, v[0:1]
	v_add_u32_e32 v1, s4, v1
	global_load_dwordx2 v[26:27], v[4:5], off offset:2024
	global_load_dwordx2 v[24:25], v[0:1], off
	v_add_u32_e32 v16, 0x800, v80
	v_add_u32_e32 v17, 0xc00, v80
	s_load_dwordx4 s[4:7], s[6:7], 0x0
	s_mov_b32 s12, 0x3f737871
	s_mov_b32 s14, 0x3f167918
	;; [unrolled: 1-line block ×6, first 2 shown]
                                        ; implicit-def: $vgpr122
                                        ; implicit-def: $vgpr124
                                        ; implicit-def: $vgpr126
                                        ; implicit-def: $vgpr128
                                        ; implicit-def: $vgpr130
                                        ; implicit-def: $vgpr132
                                        ; implicit-def: $vgpr150
                                        ; implicit-def: $vgpr134
                                        ; implicit-def: $vgpr72
                                        ; implicit-def: $vgpr76
	s_waitcnt vmcnt(18)
	v_accvgpr_write_b32 a20, v44
	v_mul_f32_e32 v0, v3, v45
	v_mul_f32_e32 v1, v2, v45
	v_fmac_f32_e32 v0, v2, v44
	v_fma_f32 v1, v3, v44, -v1
	s_waitcnt vmcnt(14)
	v_mul_f32_e32 v2, v11, v43
	v_mul_f32_e32 v3, v10, v43
	v_fmac_f32_e32 v2, v10, v42
	v_fma_f32 v3, v11, v42, -v3
	ds_write2_b64 v80, v[0:1], v[2:3] offset1:85
	s_waitcnt vmcnt(13)
	v_mul_f32_e32 v0, v13, v39
	v_mul_f32_e32 v1, v12, v39
	s_waitcnt vmcnt(12)
	v_mul_f32_e32 v2, v15, v35
	v_mul_f32_e32 v3, v14, v35
	v_fmac_f32_e32 v0, v12, v38
	v_fma_f32 v1, v13, v38, -v1
	v_fmac_f32_e32 v2, v14, v34
	v_fma_f32 v3, v15, v34, -v3
	ds_write2_b64 v80, v[0:1], v[2:3] offset0:170 offset1:255
	s_waitcnt vmcnt(9)
	v_mul_f32_e32 v0, v19, v41
	v_mul_f32_e32 v1, v18, v41
	s_waitcnt vmcnt(7)
	v_mul_f32_e32 v2, v7, v37
	v_mul_f32_e32 v3, v6, v37
	v_fmac_f32_e32 v0, v18, v40
	v_fma_f32 v1, v19, v40, -v1
	v_fmac_f32_e32 v2, v6, v36
	v_fma_f32 v3, v7, v36, -v3
	ds_write2_b64 v16, v[0:1], v[2:3] offset0:84 offset1:169
	s_waitcnt vmcnt(6)
	v_mul_f32_e32 v0, v9, v31
	v_mul_f32_e32 v1, v8, v31
	v_fmac_f32_e32 v0, v8, v30
	s_waitcnt vmcnt(4)
	v_mul_f32_e32 v2, v21, v33
	v_mul_f32_e32 v3, v20, v33
	v_fma_f32 v1, v9, v30, -v1
	v_fmac_f32_e32 v2, v20, v32
	v_fma_f32 v3, v21, v32, -v3
	ds_write2_b64 v17, v[0:1], v[2:3] offset0:126 offset1:211
	s_waitcnt vmcnt(2)
	v_mul_f32_e32 v0, v23, v29
	v_mul_f32_e32 v1, v22, v29
	s_waitcnt vmcnt(0)
	v_mul_f32_e32 v2, v25, v27
	v_mul_f32_e32 v3, v24, v27
	v_fmac_f32_e32 v0, v22, v28
	v_fma_f32 v1, v23, v28, -v1
	v_fmac_f32_e32 v2, v24, v26
	v_fma_f32 v3, v25, v26, -v3
	v_add_u32_e32 v18, 0x1000, v80
	ds_write2_b64 v18, v[0:1], v[2:3] offset0:168 offset1:253
	s_waitcnt lgkmcnt(0)
	s_barrier
	ds_read2_b64 v[0:3], v80 offset1:85
	ds_read2_b64 v[4:7], v80 offset0:170 offset1:255
	ds_read2_b64 v[8:11], v18 offset0:168 offset1:253
	;; [unrolled: 1-line block ×4, first 2 shown]
	v_accvgpr_write_b32 a0, v26
	v_accvgpr_write_b32 a14, v38
	;; [unrolled: 1-line block ×6, first 2 shown]
	s_waitcnt lgkmcnt(3)
	v_pk_add_f32 v[24:25], v[0:1], v[4:5]
	v_pk_add_f32 v[26:27], v[2:3], v[6:7]
	v_accvgpr_write_b32 a18, v42
	v_accvgpr_write_b32 a15, v39
	;; [unrolled: 1-line block ×8, first 2 shown]
	s_waitcnt lgkmcnt(2)
	v_pk_add_f32 v[34:35], v[6:7], v[10:11] neg_lo:[0,1] neg_hi:[0,1]
	v_pk_add_f32 v[36:37], v[6:7], v[10:11]
	s_waitcnt lgkmcnt(1)
	v_pk_add_f32 v[38:39], v[14:15], v[6:7] neg_lo:[0,1] neg_hi:[0,1]
	v_pk_add_f32 v[40:41], v[6:7], v[14:15] neg_lo:[0,1] neg_hi:[0,1]
	v_pk_add_f32 v[6:7], v[24:25], v[12:13]
	v_pk_add_f32 v[24:25], v[26:27], v[14:15]
	v_accvgpr_write_b32 a21, v45
	v_accvgpr_write_b32 a19, v43
	;; [unrolled: 1-line block ×5, first 2 shown]
	v_pk_add_f32 v[28:29], v[4:5], v[8:9] neg_lo:[0,1] neg_hi:[0,1]
	v_pk_add_f32 v[30:31], v[4:5], v[12:13] neg_lo:[0,1] neg_hi:[0,1]
	v_pk_add_f32 v[32:33], v[4:5], v[8:9]
	v_pk_add_f32 v[4:5], v[12:13], v[4:5] neg_lo:[0,1] neg_hi:[0,1]
	s_waitcnt lgkmcnt(0)
	v_pk_add_f32 v[26:27], v[12:13], v[20:21]
	v_pk_add_f32 v[12:13], v[12:13], v[20:21] neg_lo:[0,1] neg_hi:[0,1]
	v_pk_add_f32 v[42:43], v[14:15], v[22:23] neg_lo:[0,1] neg_hi:[0,1]
	v_pk_add_f32 v[6:7], v[6:7], v[20:21]
	v_pk_add_f32 v[24:25], v[24:25], v[22:23]
	v_pk_add_f32 v[44:45], v[8:9], v[20:21] neg_lo:[0,1] neg_hi:[0,1]
	v_pk_add_f32 v[20:21], v[20:21], v[8:9] neg_lo:[0,1] neg_hi:[0,1]
	v_pk_add_f32 v[14:15], v[14:15], v[22:23]
	v_pk_add_f32 v[46:47], v[22:23], v[10:11] neg_lo:[0,1] neg_hi:[0,1]
	v_pk_add_f32 v[22:23], v[10:11], v[22:23] neg_lo:[0,1] neg_hi:[0,1]
	v_pk_add_f32 v[10:11], v[24:25], v[10:11]
	v_pk_add_f32 v[4:5], v[4:5], v[20:21]
	v_pk_fma_f32 v[20:21], v[36:37], 0.5, v[2:3] op_sel_hi:[1,0,1] neg_lo:[1,0,0] neg_hi:[1,0,0]
	v_pk_mul_f32 v[24:25], v[42:43], s[12:13] op_sel_hi:[1,0]
	v_pk_add_f32 v[8:9], v[6:7], v[8:9]
	v_pk_add_f32 v[36:37], v[20:21], v[24:25] op_sel:[0,1] op_sel_hi:[1,0] neg_lo:[0,1] neg_hi:[0,1]
	v_pk_add_f32 v[20:21], v[20:21], v[24:25] op_sel:[0,1] op_sel_hi:[1,0]
	v_pk_mul_f32 v[24:25], v[34:35], s[14:15] op_sel_hi:[1,0]
	v_pk_add_f32 v[6:7], v[38:39], v[46:47]
	v_pk_add_f32 v[20:21], v[20:21], v[24:25] op_sel:[0,1] op_sel_hi:[1,0] neg_lo:[0,1] neg_hi:[0,1]
	v_pk_add_f32 v[24:25], v[36:37], v[24:25] op_sel:[0,1] op_sel_hi:[1,0]
	v_mov_b32_e32 v37, v21
	v_mov_b32_e32 v36, v24
	v_pk_fma_f32 v[36:37], v[6:7], s[2:3], v[36:37] op_sel_hi:[1,0,1]
	v_pk_fma_f32 v[32:33], v[32:33], 0.5, v[0:1] op_sel_hi:[1,0,1] neg_lo:[1,0,0] neg_hi:[1,0,0]
	v_pk_mul_f32 v[38:39], v[36:37], s[12:13] op_sel_hi:[1,0]
	v_mov_b32_e32 v21, v25
	v_pk_fma_f32 v[46:47], v[36:37], s[2:3], v[38:39] op_sel:[0,0,1] op_sel_hi:[1,0,0]
	v_pk_fma_f32 v[36:37], v[36:37], s[2:3], v[38:39] op_sel:[0,0,1] op_sel_hi:[1,0,0] neg_lo:[0,0,1] neg_hi:[0,0,1]
	v_pk_fma_f32 v[6:7], v[6:7], s[2:3], v[20:21] op_sel_hi:[1,0,1]
	v_mov_b32_e32 v47, v37
	v_pk_mul_f32 v[36:37], v[12:13], s[12:13] op_sel_hi:[1,0]
	v_pk_mul_f32 v[20:21], v[6:7], s[2:3] op_sel_hi:[1,0]
	v_pk_add_f32 v[38:39], v[32:33], v[36:37] op_sel:[0,1] op_sel_hi:[1,0] neg_lo:[0,1] neg_hi:[0,1]
	v_pk_add_f32 v[32:33], v[32:33], v[36:37] op_sel:[0,1] op_sel_hi:[1,0]
	v_pk_mul_f32 v[36:37], v[28:29], s[14:15] op_sel_hi:[1,0]
	v_pk_fma_f32 v[20:21], v[6:7], s[16:17], v[20:21] op_sel:[0,0,1] op_sel_hi:[1,1,0] neg_lo:[0,0,1] neg_hi:[0,0,1]
	v_pk_add_f32 v[32:33], v[32:33], v[36:37] op_sel:[0,1] op_sel_hi:[1,0] neg_lo:[0,1] neg_hi:[0,1]
	v_pk_add_f32 v[36:37], v[38:39], v[36:37] op_sel:[0,1] op_sel_hi:[1,0]
	v_mov_b32_e32 v7, v33
	v_mov_b32_e32 v6, v36
	;; [unrolled: 1-line block ×3, first 2 shown]
	v_pk_fma_f32 v[24:25], v[4:5], s[2:3], v[6:7] op_sel_hi:[1,0,1]
	v_pk_fma_f32 v[32:33], v[4:5], s[2:3], v[32:33] op_sel_hi:[1,0,1]
	v_mul_lo_u16_e32 v4, 10, v82
	v_lshlrev_b32_e32 v19, 3, v4
	v_pk_add_f32 v[4:5], v[24:25], v[46:47]
	v_pk_add_f32 v[6:7], v[32:33], v[20:21] op_sel:[0,1] op_sel_hi:[1,0]
	s_barrier
	ds_write_b128 v19, v[4:7] offset:16
	v_pk_fma_f32 v[0:1], v[26:27], 0.5, v[0:1] op_sel_hi:[1,0,1] neg_lo:[1,0,0] neg_hi:[1,0,0]
	v_pk_mul_f32 v[6:7], v[28:29], s[12:13] op_sel_hi:[1,0]
	v_pk_fma_f32 v[2:3], v[14:15], 0.5, v[2:3] op_sel_hi:[1,0,1] neg_lo:[1,0,0] neg_hi:[1,0,0]
	v_pk_add_f32 v[14:15], v[0:1], v[6:7] op_sel:[0,1] op_sel_hi:[1,0]
	v_pk_add_f32 v[0:1], v[0:1], v[6:7] op_sel:[0,1] op_sel_hi:[1,0] neg_lo:[0,1] neg_hi:[0,1]
	v_pk_mul_f32 v[6:7], v[12:13], s[14:15] op_sel_hi:[1,0]
	v_pk_add_f32 v[4:5], v[30:31], v[44:45]
	v_pk_add_f32 v[12:13], v[0:1], v[6:7] op_sel:[0,1] op_sel_hi:[1,0] neg_lo:[0,1] neg_hi:[0,1]
	v_pk_add_f32 v[0:1], v[14:15], v[6:7] op_sel:[0,1] op_sel_hi:[1,0]
	v_mov_b32_e32 v7, v13
	v_mov_b32_e32 v6, v0
	;; [unrolled: 1-line block ×3, first 2 shown]
	v_pk_fma_f32 v[6:7], v[4:5], s[2:3], v[6:7] op_sel_hi:[1,0,1]
	v_pk_fma_f32 v[4:5], v[4:5], s[2:3], v[12:13] op_sel_hi:[1,0,1]
	v_pk_mul_f32 v[12:13], v[34:35], s[12:13] op_sel_hi:[1,0]
	v_pk_add_f32 v[14:15], v[40:41], v[22:23]
	v_pk_add_f32 v[22:23], v[2:3], v[12:13] op_sel:[0,1] op_sel_hi:[1,0]
	v_pk_mul_f32 v[26:27], v[42:43], s[14:15] op_sel_hi:[1,0]
	v_pk_add_f32 v[2:3], v[2:3], v[12:13] op_sel:[0,1] op_sel_hi:[1,0] neg_lo:[0,1] neg_hi:[0,1]
	v_pk_add_f32 v[22:23], v[26:27], v[22:23] op_sel:[1,0] op_sel_hi:[0,1]
	v_pk_add_f32 v[2:3], v[2:3], v[26:27] op_sel:[0,1] op_sel_hi:[1,0] neg_lo:[0,1] neg_hi:[0,1]
	v_pk_fma_f32 v[12:13], v[14:15], s[2:3], v[22:23] op_sel_hi:[1,0,1]
	v_pk_fma_f32 v[26:27], v[14:15], s[2:3], v[2:3] op_sel_hi:[1,0,1]
	v_mov_b32_e32 v3, v23
	v_pk_fma_f32 v[2:3], v[14:15], s[2:3], v[2:3] op_sel_hi:[1,0,1]
	s_mov_b32 s16, 0xbf167918
	s_mov_b32 s17, s14
	v_pk_mul_f32 v[14:15], v[2:3], s[18:19] op_sel_hi:[1,0]
	s_mov_b32 s19, s14
	v_pk_fma_f32 v[14:15], v[2:3], s[16:17], v[14:15] op_sel:[0,0,1] op_sel_hi:[1,1,0] neg_lo:[0,0,1] neg_hi:[0,0,1]
	v_pk_mul_f32 v[2:3], v[12:13], s[18:19] op_sel_hi:[0,1]
	s_mov_b32 s15, s18
	v_pk_fma_f32 v[12:13], v[26:27], s[14:15], v[2:3] op_sel:[1,0,0]
	v_pk_fma_f32 v[2:3], v[26:27], s[14:15], v[2:3] op_sel:[1,0,0] neg_lo:[0,0,1] neg_hi:[0,0,1]
	v_pk_add_f32 v[0:1], v[8:9], v[10:11]
	v_mov_b32_e32 v13, v3
	v_pk_add_f32 v[2:3], v[6:7], v[12:13]
	v_pk_add_f32 v[22:23], v[4:5], v[14:15] op_sel:[1,0] op_sel_hi:[0,1]
	ds_write_b128 v19, v[0:3]
	v_pk_add_f32 v[2:3], v[8:9], v[10:11] neg_lo:[0,1] neg_hi:[0,1]
	v_mov_b32_e32 v0, v23
	v_mov_b32_e32 v1, v22
	ds_write_b128 v19, v[0:3] offset:32
	v_pk_add_f32 v[0:1], v[6:7], v[12:13] neg_lo:[0,1] neg_hi:[0,1]
	v_pk_add_f32 v[2:3], v[24:25], v[46:47] neg_lo:[0,1] neg_hi:[0,1]
	v_pk_add_f32 v[4:5], v[4:5], v[14:15] op_sel:[1,0] op_sel_hi:[0,1] neg_lo:[0,1] neg_hi:[0,1]
	ds_write_b128 v19, v[0:3] offset:48
	v_pk_add_f32 v[0:1], v[32:33], v[20:21] op_sel:[0,1] op_sel_hi:[1,0] neg_lo:[0,1] neg_hi:[0,1]
	v_mov_b32_e32 v2, v5
	v_mov_b32_e32 v3, v4
	s_movk_i32 s3, 0xcd
	ds_write_b128 v19, v[0:3] offset:64
	v_mul_lo_u16_sdwa v0, v82, s3 dst_sel:DWORD dst_unused:UNUSED_PAD src0_sel:BYTE_0 src1_sel:DWORD
	v_accvgpr_write_b32 a22, v19
	v_lshrrev_b16_e32 v19, 11, v0
	v_mul_lo_u16_e32 v0, 10, v19
	v_sub_u16_e32 v0, v82, v0
	v_and_b32_e32 v68, 0xff, v0
	v_lshlrev_b32_e32 v8, 5, v68
	s_waitcnt lgkmcnt(0)
	s_barrier
	global_load_dwordx4 v[4:7], v8, s[10:11]
	global_load_dwordx4 v[0:3], v8, s[10:11] offset:16
	v_add_u16_e32 v8, 0x55, v82
	v_mul_lo_u16_sdwa v9, v8, s3 dst_sel:DWORD dst_unused:UNUSED_PAD src0_sel:BYTE_0 src1_sel:DWORD
	v_lshrrev_b16_e32 v69, 11, v9
	v_mul_lo_u16_e32 v9, 10, v69
	v_sub_u16_e32 v8, v8, v9
	v_and_b32_e32 v70, 0xff, v8
	v_lshlrev_b32_e32 v20, 5, v70
	global_load_dwordx4 v[8:11], v20, s[10:11]
	global_load_dwordx4 v[12:15], v20, s[10:11] offset:16
	ds_read2_b64 v[20:23], v80 offset0:170 offset1:255
	ds_read2_b64 v[24:27], v16 offset0:84 offset1:169
	;; [unrolled: 1-line block ×3, first 2 shown]
	ds_read2_b64 v[36:39], v80 offset1:85
	s_waitcnt vmcnt(3) lgkmcnt(3)
	v_pk_mul_f32 v[32:33], v[20:21], v[4:5] op_sel:[0,1]
	v_mov_b32_e32 v34, v7
	v_pk_fma_f32 v[40:41], v[20:21], v[4:5], v[32:33] op_sel:[0,0,1] op_sel_hi:[1,1,0] neg_lo:[0,0,1] neg_hi:[0,0,1]
	v_pk_fma_f32 v[20:21], v[20:21], v[4:5], v[32:33] op_sel:[0,0,1] op_sel_hi:[1,0,0]
	s_waitcnt vmcnt(2)
	v_accvgpr_write_b32 a30, v3
	v_mov_b32_e32 v41, v21
	s_waitcnt lgkmcnt(2)
	v_pk_mul_f32 v[20:21], v[24:25], v[34:35] op_sel_hi:[1,0]
	ds_read2_b64 v[32:35], v18 offset0:168 offset1:253
	v_pk_fma_f32 v[42:43], v[24:25], v[6:7], v[20:21] op_sel:[0,0,1] op_sel_hi:[1,1,0] neg_lo:[0,0,1] neg_hi:[0,0,1]
	v_pk_fma_f32 v[20:21], v[24:25], v[6:7], v[20:21] op_sel:[0,0,1] op_sel_hi:[1,0,0]
	v_accvgpr_write_b32 a28, v7
	v_mov_b32_e32 v43, v21
	s_waitcnt lgkmcnt(2)
	v_pk_mul_f32 v[20:21], v[28:29], v[0:1] op_sel:[0,1]
	s_waitcnt vmcnt(1)
	v_accvgpr_write_b32 a24, v11
	v_pk_fma_f32 v[24:25], v[28:29], v[0:1], v[20:21] op_sel:[0,0,1] op_sel_hi:[1,1,0] neg_lo:[0,0,1] neg_hi:[0,0,1]
	v_pk_fma_f32 v[20:21], v[28:29], v[0:1], v[20:21] op_sel:[0,0,1] op_sel_hi:[1,0,0]
	s_waitcnt vmcnt(0)
	v_accvgpr_write_b32 a26, v15
	v_mov_b32_e32 v20, v3
	v_mov_b32_e32 v25, v21
	s_waitcnt lgkmcnt(0)
	v_pk_mul_f32 v[20:21], v[32:33], v[20:21] op_sel_hi:[1,0]
	v_pk_add_f32 v[44:45], v[42:43], v[24:25] neg_lo:[0,1] neg_hi:[0,1]
	v_pk_fma_f32 v[28:29], v[32:33], v[2:3], v[20:21] op_sel:[0,0,1] op_sel_hi:[1,1,0] neg_lo:[0,0,1] neg_hi:[0,0,1]
	v_pk_fma_f32 v[20:21], v[32:33], v[2:3], v[20:21] op_sel:[0,0,1] op_sel_hi:[1,0,0]
	v_mul_u32_u24_e32 v3, 50, v19
	v_mov_b32_e32 v29, v21
	v_pk_add_f32 v[20:21], v[42:43], v[40:41] neg_lo:[0,1] neg_hi:[0,1]
	v_pk_add_f32 v[32:33], v[24:25], v[28:29] neg_lo:[0,1] neg_hi:[0,1]
	v_pk_add_f32 v[48:49], v[40:41], v[28:29] neg_lo:[0,1] neg_hi:[0,1]
	v_pk_add_f32 v[20:21], v[20:21], v[32:33]
	v_pk_add_f32 v[32:33], v[40:41], v[28:29]
	v_add_lshl_u32 v7, v3, v68, 3
	v_pk_fma_f32 v[32:33], v[32:33], 0.5, v[36:37] op_sel_hi:[1,0,1] neg_lo:[1,0,0] neg_hi:[1,0,0]
	v_mul_u32_u24_e32 v3, 50, v69
	v_pk_fma_f32 v[46:47], v[44:45], s[12:13], v[32:33] op_sel:[1,0,0] op_sel_hi:[0,0,1] neg_lo:[1,0,0] neg_hi:[1,0,0]
	v_pk_fma_f32 v[32:33], v[44:45], s[12:13], v[32:33] op_sel:[1,0,0] op_sel_hi:[0,0,1]
	v_pk_fma_f32 v[32:33], v[48:49], s[14:15], v[32:33] op_sel:[1,0,0] op_sel_hi:[0,0,1] neg_lo:[1,0,0] neg_hi:[1,0,0]
	v_pk_fma_f32 v[46:47], v[48:49], s[14:15], v[46:47] op_sel:[1,0,0] op_sel_hi:[0,0,1]
	v_mov_b32_e32 v50, v46
	v_mov_b32_e32 v51, v33
	;; [unrolled: 1-line block ×3, first 2 shown]
	v_pk_fma_f32 v[52:53], v[20:21], s[2:3], v[50:51] op_sel_hi:[1,0,1]
	v_pk_fma_f32 v[54:55], v[20:21], s[2:3], v[32:33] op_sel_hi:[1,0,1]
	v_pk_mul_f32 v[20:21], v[22:23], v[8:9] op_sel:[0,1]
	v_pk_add_f32 v[50:51], v[28:29], v[24:25] neg_lo:[0,1] neg_hi:[0,1]
	v_pk_fma_f32 v[32:33], v[22:23], v[8:9], v[20:21] op_sel:[0,0,1] op_sel_hi:[1,1,0] neg_lo:[0,0,1] neg_hi:[0,0,1]
	v_pk_fma_f32 v[20:21], v[22:23], v[8:9], v[20:21] op_sel:[0,0,1] op_sel_hi:[1,0,0]
	v_add_lshl_u32 v3, v3, v70, 3
	v_mov_b32_e32 v20, v11
	v_pk_mul_f32 v[22:23], v[26:27], v[20:21] op_sel_hi:[1,0]
	v_mov_b32_e32 v20, v15
	v_pk_fma_f32 v[46:47], v[26:27], v[10:11], v[22:23] op_sel:[0,0,1] op_sel_hi:[1,1,0] neg_lo:[0,0,1] neg_hi:[0,0,1]
	v_pk_fma_f32 v[22:23], v[26:27], v[10:11], v[22:23] op_sel:[0,0,1] op_sel_hi:[1,0,0]
	v_pk_mul_f32 v[26:27], v[30:31], v[12:13] op_sel:[0,1]
	v_mov_b32_e32 v33, v21
	v_pk_fma_f32 v[60:61], v[30:31], v[12:13], v[26:27] op_sel:[0,0,1] op_sel_hi:[1,1,0] neg_lo:[0,0,1] neg_hi:[0,0,1]
	v_pk_fma_f32 v[26:27], v[30:31], v[12:13], v[26:27] op_sel:[0,0,1] op_sel_hi:[1,0,0]
	v_pk_mul_f32 v[30:31], v[34:35], v[20:21] op_sel_hi:[1,0]
	v_mov_b32_e32 v47, v23
	v_pk_fma_f32 v[62:63], v[34:35], v[14:15], v[30:31] op_sel:[0,0,1] op_sel_hi:[1,1,0] neg_lo:[0,0,1] neg_hi:[0,0,1]
	v_pk_fma_f32 v[30:31], v[34:35], v[14:15], v[30:31] op_sel:[0,0,1] op_sel_hi:[1,0,0]
	v_pk_add_f32 v[34:35], v[40:41], v[42:43] neg_lo:[0,1] neg_hi:[0,1]
	v_pk_add_f32 v[40:41], v[36:37], v[40:41]
	v_mov_b32_e32 v61, v27
	v_pk_add_f32 v[40:41], v[40:41], v[42:43]
	v_pk_add_f32 v[42:43], v[42:43], v[24:25]
	v_mov_b32_e32 v63, v31
	v_pk_add_f32 v[26:27], v[38:39], v[32:33]
	v_pk_fma_f32 v[36:37], v[42:43], 0.5, v[36:37] op_sel_hi:[1,0,1] neg_lo:[1,0,0] neg_hi:[1,0,0]
	v_pk_add_f32 v[20:21], v[32:33], v[46:47] neg_lo:[0,1] neg_hi:[0,1]
	v_pk_add_f32 v[22:23], v[62:63], v[60:61] neg_lo:[0,1] neg_hi:[0,1]
	v_pk_add_f32 v[26:27], v[26:27], v[46:47]
	v_pk_add_f32 v[24:25], v[40:41], v[24:25]
	v_pk_fma_f32 v[40:41], v[48:49], s[12:13], v[36:37] op_sel:[1,0,0] op_sel_hi:[0,0,1]
	v_pk_fma_f32 v[36:37], v[48:49], s[12:13], v[36:37] op_sel:[1,0,0] op_sel_hi:[0,0,1] neg_lo:[1,0,0] neg_hi:[1,0,0]
	v_pk_add_f32 v[20:21], v[20:21], v[22:23]
	v_pk_add_f32 v[22:23], v[46:47], v[60:61]
	;; [unrolled: 1-line block ×3, first 2 shown]
	v_pk_fma_f32 v[36:37], v[44:45], s[14:15], v[36:37] op_sel:[1,0,0] op_sel_hi:[0,0,1] neg_lo:[1,0,0] neg_hi:[1,0,0]
	v_pk_fma_f32 v[40:41], v[44:45], s[14:15], v[40:41] op_sel:[1,0,0] op_sel_hi:[0,0,1]
	v_pk_fma_f32 v[22:23], v[22:23], 0.5, v[38:39] op_sel_hi:[1,0,1] neg_lo:[1,0,0] neg_hi:[1,0,0]
	v_pk_add_f32 v[58:59], v[26:27], v[62:63]
	v_pk_add_f32 v[26:27], v[32:33], v[62:63] neg_lo:[0,1] neg_hi:[0,1]
	v_pk_add_f32 v[34:35], v[34:35], v[50:51]
	v_pk_add_f32 v[48:49], v[24:25], v[28:29]
	v_mov_b32_e32 v24, v40
	v_mov_b32_e32 v25, v37
	v_pk_fma_f32 v[28:29], v[26:27], s[12:13], v[22:23] op_sel:[1,0,0] op_sel_hi:[0,0,1]
	v_pk_fma_f32 v[22:23], v[26:27], s[12:13], v[22:23] op_sel:[1,0,0] op_sel_hi:[0,0,1] neg_lo:[1,0,0] neg_hi:[1,0,0]
	v_pk_add_f32 v[30:31], v[46:47], v[60:61] neg_lo:[0,1] neg_hi:[0,1]
	v_pk_fma_f32 v[50:51], v[34:35], s[2:3], v[24:25] op_sel_hi:[1,0,1]
	v_mov_b32_e32 v37, v41
	v_pk_add_f32 v[24:25], v[32:33], v[62:63]
	v_pk_fma_f32 v[22:23], v[30:31], s[14:15], v[22:23] op_sel:[1,0,0] op_sel_hi:[0,0,1] neg_lo:[1,0,0] neg_hi:[1,0,0]
	v_pk_fma_f32 v[28:29], v[30:31], s[14:15], v[28:29] op_sel:[1,0,0] op_sel_hi:[0,0,1]
	v_pk_fma_f32 v[24:25], v[24:25], 0.5, v[38:39] op_sel_hi:[1,0,1] neg_lo:[1,0,0] neg_hi:[1,0,0]
	v_pk_fma_f32 v[56:57], v[34:35], s[2:3], v[36:37] op_sel_hi:[1,0,1]
	v_mov_b32_e32 v34, v28
	v_mov_b32_e32 v35, v23
	v_mov_b32_e32 v23, v29
	v_pk_add_f32 v[28:29], v[46:47], v[32:33] neg_lo:[0,1] neg_hi:[0,1]
	v_pk_add_f32 v[32:33], v[60:61], v[62:63] neg_lo:[0,1] neg_hi:[0,1]
	v_pk_fma_f32 v[60:61], v[20:21], s[2:3], v[34:35] op_sel_hi:[1,0,1]
	v_pk_add_f32 v[28:29], v[28:29], v[32:33]
	v_pk_fma_f32 v[32:33], v[30:31], s[12:13], v[24:25] op_sel:[1,0,0] op_sel_hi:[0,0,1] neg_lo:[1,0,0] neg_hi:[1,0,0]
	v_pk_fma_f32 v[24:25], v[30:31], s[12:13], v[24:25] op_sel:[1,0,0] op_sel_hi:[0,0,1]
	v_pk_fma_f32 v[24:25], v[26:27], s[14:15], v[24:25] op_sel:[1,0,0] op_sel_hi:[0,0,1] neg_lo:[1,0,0] neg_hi:[1,0,0]
	v_pk_fma_f32 v[26:27], v[26:27], s[14:15], v[32:33] op_sel:[1,0,0] op_sel_hi:[0,0,1]
	v_mov_b32_e32 v30, v26
	v_mov_b32_e32 v31, v25
	;; [unrolled: 1-line block ×3, first 2 shown]
	v_pk_fma_f32 v[62:63], v[28:29], s[2:3], v[30:31] op_sel_hi:[1,0,1]
	v_pk_fma_f32 v[66:67], v[20:21], s[2:3], v[22:23] op_sel_hi:[1,0,1]
	;; [unrolled: 1-line block ×3, first 2 shown]
	s_load_dwordx2 s[2:3], s[0:1], 0x38
	v_accvgpr_write_b32 a23, v7
	v_accvgpr_write_b32 a36, v3
	v_cmp_gt_u16_e64 s[0:1], 50, v82
	v_accvgpr_write_b32 a46, v1
	v_accvgpr_write_b32 a48, v5
	;; [unrolled: 1-line block ×4, first 2 shown]
	s_waitcnt lgkmcnt(0)
	s_barrier
	ds_write2_b64 v7, v[48:49], v[50:51] offset1:10
	ds_write2_b64 v7, v[52:53], v[54:55] offset0:20 offset1:30
	ds_write_b64 v7, v[56:57] offset:320
	ds_write2_b64 v3, v[58:59], v[60:61] offset1:10
	ds_write2_b64 v3, v[62:63], v[64:65] offset0:20 offset1:30
	ds_write_b64 v3, v[66:67] offset:320
	s_waitcnt lgkmcnt(0)
	s_barrier
	s_waitcnt lgkmcnt(0)
                                        ; implicit-def: $vgpr68
	s_and_saveexec_b64 s[12:13], s[0:1]
	s_cbranch_execz .LBB0_3
; %bb.2:
	ds_read2_b64 v[48:51], v80 offset1:50
	ds_read2_b64 v[52:55], v80 offset0:100 offset1:150
	ds_read2_b64 v[56:59], v80 offset0:200 offset1:250
	;; [unrolled: 1-line block ×7, first 2 shown]
	ds_read_b64 v[150:151], v80 offset:6400
	s_waitcnt lgkmcnt(4)
	v_mov_b32_e32 v122, v69
	v_mov_b32_e32 v124, v71
	s_waitcnt lgkmcnt(2)
	v_mov_b32_e32 v126, v73
	v_mov_b32_e32 v128, v75
	;; [unrolled: 3-line block ×3, first 2 shown]
	s_waitcnt lgkmcnt(0)
	v_mov_b32_e32 v134, v151
.LBB0_3:
	s_or_b64 exec, exec, s[12:13]
	s_movk_i32 s12, 0xfce0
	v_lshlrev_b32_e32 v18, 4, v82
	v_mov_b32_e32 v19, 0
	s_mov_b32 s13, -1
	v_lshl_add_u64 v[16:17], v[18:19], 0, s[12:13]
	v_cndmask_b32_e64 v17, v17, 0, s[0:1]
	v_cndmask_b32_e64 v16, v16, v18, s[0:1]
	v_accvgpr_write_b32 a9, v82
	v_lshl_add_u64 v[82:83], v[16:17], 3, s[10:11]
	v_accvgpr_write_b32 a37, v19
	global_load_dwordx4 v[16:19], v[82:83], off offset:320
	global_load_dwordx4 v[20:23], v[82:83], off offset:336
	;; [unrolled: 1-line block ×8, first 2 shown]
	s_mov_b32 s42, 0xbf2c7751
	s_mov_b32 s30, 0xbf7ee86f
	;; [unrolled: 1-line block ×22, first 2 shown]
	v_mov_b32_e32 v5, v4
	v_accvgpr_mov_b32 a49, a48
	v_mov_b32_e32 v7, v6
	v_accvgpr_mov_b32 a29, a28
	;; [unrolled: 2-line block ×8, first 2 shown]
	s_waitcnt vmcnt(7)
	v_pk_mul_f32 v[112:113], v[50:51], v[16:17] op_sel:[1,0]
	s_waitcnt vmcnt(6)
	v_pk_mul_f32 v[84:85], v[54:55], v[20:21] op_sel:[1,0]
	v_pk_mul_f32 v[82:83], v[52:53], v[18:19] op_sel:[1,0]
	v_pk_fma_f32 v[152:153], v[50:51], v[16:17], v[112:113] op_sel:[0,0,1] op_sel_hi:[1,1,0] neg_lo:[0,0,1] neg_hi:[0,0,1]
	v_pk_fma_f32 v[50:51], v[50:51], v[16:17], v[112:113] op_sel:[0,0,1] op_sel_hi:[0,1,0]
	s_waitcnt vmcnt(2)
	v_pk_mul_f32 v[100:101], v[124:125], v[36:37] op_sel_hi:[0,1]
	v_pk_fma_f32 v[124:125], v[54:55], v[20:21], v[84:85] op_sel:[0,0,1] op_sel_hi:[1,1,0] neg_lo:[0,0,1] neg_hi:[0,0,1]
	s_waitcnt vmcnt(0)
	v_pk_mul_f32 v[110:111], v[134:135], v[46:47] op_sel_hi:[0,1]
	v_pk_mul_f32 v[106:107], v[132:133], v[44:45] op_sel_hi:[0,1]
	v_pk_fma_f32 v[54:55], v[54:55], v[20:21], v[84:85] op_sel:[0,0,1] op_sel_hi:[0,1,0]
	v_pk_fma_f32 v[148:149], v[150:151], v[46:47], v[110:111] op_sel:[0,0,1] op_sel_hi:[1,1,0] neg_lo:[0,0,1] neg_hi:[0,0,1]
	v_pk_fma_f32 v[84:85], v[150:151], v[46:47], v[110:111] op_sel:[0,0,1] op_sel_hi:[0,1,0]
	v_pk_mul_f32 v[92:93], v[62:63], v[28:29] op_sel:[1,0]
	v_pk_mul_f32 v[98:99], v[122:123], v[34:35] op_sel_hi:[0,1]
	v_pk_fma_f32 v[122:123], v[52:53], v[18:19], v[82:83] op_sel:[0,0,1] op_sel_hi:[1,1,0] neg_lo:[0,0,1] neg_hi:[0,0,1]
	v_pk_fma_f32 v[52:53], v[52:53], v[18:19], v[82:83] op_sel:[0,0,1] op_sel_hi:[0,1,0]
	v_pk_fma_f32 v[146:147], v[78:79], v[44:45], v[106:107] op_sel:[0,0,1] op_sel_hi:[1,1,0] neg_lo:[0,0,1] neg_hi:[0,0,1]
	v_pk_fma_f32 v[82:83], v[78:79], v[44:45], v[106:107] op_sel:[0,0,1] op_sel_hi:[0,1,0]
	v_mov_b32_e32 v153, v51
	v_mov_b32_e32 v149, v85
	v_pk_mul_f32 v[94:95], v[64:65], v[30:31] op_sel:[1,0]
	v_pk_fma_f32 v[132:133], v[62:63], v[28:29], v[92:93] op_sel:[0,0,1] op_sel_hi:[1,1,0] neg_lo:[0,0,1] neg_hi:[0,0,1]
	v_pk_fma_f32 v[62:63], v[62:63], v[28:29], v[92:93] op_sel:[0,0,1] op_sel_hi:[0,1,0]
	v_mov_b32_e32 v123, v53
	v_mov_b32_e32 v147, v83
	v_pk_add_f32 v[178:179], v[152:153], v[148:149] neg_lo:[0,1] neg_hi:[0,1]
	v_pk_mul_f32 v[108:109], v[130:131], v[42:43] op_sel_hi:[0,1]
	v_accvgpr_write_b32 a41, v23
	v_pk_fma_f32 v[134:135], v[64:65], v[30:31], v[94:95] op_sel:[0,0,1] op_sel_hi:[1,1,0] neg_lo:[0,0,1] neg_hi:[0,0,1]
	v_pk_fma_f32 v[64:65], v[64:65], v[30:31], v[94:95] op_sel:[0,0,1] op_sel_hi:[0,1,0]
	v_mov_b32_e32 v133, v63
	v_pk_add_f32 v[62:63], v[152:153], v[148:149]
	v_pk_mul_f32 v[50:51], v[178:179], s[42:43] op_sel:[1,0] op_sel_hi:[0,0]
	v_pk_add_f32 v[224:225], v[122:123], v[146:147] neg_lo:[0,1] neg_hi:[0,1]
	v_pk_mul_f32 v[86:87], v[56:57], v[22:23] op_sel:[1,0]
	v_accvgpr_write_b32 a40, v22
	v_accvgpr_write_b32 a39, v21
	;; [unrolled: 1-line block ×3, first 2 shown]
	v_pk_fma_f32 v[78:79], v[76:77], v[42:43], v[108:109] op_sel:[0,0,1] op_sel_hi:[1,1,0] neg_lo:[0,0,1] neg_hi:[0,0,1]
	v_pk_fma_f32 v[76:77], v[76:77], v[42:43], v[108:109] op_sel:[0,0,1] op_sel_hi:[0,1,0]
	v_mov_b32_e32 v135, v65
	v_pk_fma_f32 v[20:21], v[62:63], s[12:13], v[50:51] op_sel_hi:[1,0,1]
	v_pk_fma_f32 v[156:157], v[62:63], s[12:13], v[50:51] op_sel_hi:[1,0,1] neg_lo:[0,0,1] neg_hi:[0,0,1]
	v_pk_add_f32 v[64:65], v[122:123], v[146:147]
	v_pk_mul_f32 v[52:53], v[224:225], s[30:31] op_sel:[1,0] op_sel_hi:[0,0]
	v_pk_mul_f32 v[102:103], v[126:127], v[38:39] op_sel_hi:[0,1]
	v_pk_fma_f32 v[126:127], v[56:57], v[22:23], v[86:87] op_sel:[0,0,1] op_sel_hi:[1,1,0] neg_lo:[0,0,1] neg_hi:[0,0,1]
	v_pk_fma_f32 v[56:57], v[56:57], v[22:23], v[86:87] op_sel:[0,0,1] op_sel_hi:[0,1,0]
	v_mov_b32_e32 v125, v55
	v_mov_b32_e32 v79, v77
	;; [unrolled: 1-line block ×4, first 2 shown]
	v_pk_fma_f32 v[22:23], v[64:65], s[10:11], v[52:53] op_sel_hi:[1,0,1]
	v_pk_fma_f32 v[160:161], v[64:65], s[10:11], v[52:53] op_sel_hi:[1,0,1] neg_lo:[0,0,1] neg_hi:[0,0,1]
	v_pk_mul_f32 v[104:105], v[128:129], v[40:41] op_sel_hi:[0,1]
	v_pk_fma_f32 v[138:139], v[68:69], v[34:35], v[98:99] op_sel:[0,0,1] op_sel_hi:[1,1,0] neg_lo:[0,0,1] neg_hi:[0,0,1]
	v_pk_fma_f32 v[68:69], v[68:69], v[34:35], v[98:99] op_sel:[0,0,1] op_sel_hi:[0,1,0]
	v_pk_add_f32 v[50:51], v[48:49], v[50:51]
	v_mov_b32_e32 v52, v22
	v_mov_b32_e32 v53, v161
	v_pk_add_f32 v[238:239], v[124:125], v[78:79] neg_lo:[0,1] neg_hi:[0,1]
	v_pk_fma_f32 v[144:145], v[74:75], v[40:41], v[104:105] op_sel:[0,0,1] op_sel_hi:[1,1,0] neg_lo:[0,0,1] neg_hi:[0,0,1]
	v_pk_fma_f32 v[74:75], v[74:75], v[40:41], v[104:105] op_sel:[0,0,1] op_sel_hi:[0,1,0]
	v_accvgpr_write_b32 a35, v19
	v_mov_b32_e32 v139, v69
	v_pk_add_f32 v[50:51], v[52:53], v[50:51]
	v_pk_add_f32 v[68:69], v[124:125], v[78:79]
	v_pk_mul_f32 v[52:53], v[238:239], s[16:17] op_sel:[1,0] op_sel_hi:[0,0]
	v_accvgpr_write_b32 a34, v18
	v_accvgpr_write_b32 a33, v17
	;; [unrolled: 1-line block ×3, first 2 shown]
	v_mov_b32_e32 v127, v57
	v_mov_b32_e32 v145, v75
	v_pk_fma_f32 v[16:17], v[68:69], s[14:15], v[52:53] op_sel_hi:[1,0,1]
	v_pk_fma_f32 v[164:165], v[68:69], s[14:15], v[52:53] op_sel_hi:[1,0,1] neg_lo:[0,0,1] neg_hi:[0,0,1]
	v_pk_mul_f32 v[88:89], v[58:59], v[24:25] op_sel:[1,0]
	v_pk_fma_f32 v[140:141], v[70:71], v[36:37], v[100:101] op_sel:[0,0,1] op_sel_hi:[1,1,0] neg_lo:[0,0,1] neg_hi:[0,0,1]
	v_pk_fma_f32 v[70:71], v[70:71], v[36:37], v[100:101] op_sel:[0,0,1] op_sel_hi:[0,1,0]
	v_mov_b32_e32 v52, v16
	v_mov_b32_e32 v53, v165
	v_pk_add_f32 v[252:253], v[126:127], v[144:145] neg_lo:[0,1] neg_hi:[0,1]
	v_pk_fma_f32 v[128:129], v[58:59], v[24:25], v[88:89] op_sel:[0,0,1] op_sel_hi:[1,1,0] neg_lo:[0,0,1] neg_hi:[0,0,1]
	v_pk_fma_f32 v[58:59], v[58:59], v[24:25], v[88:89] op_sel:[0,0,1] op_sel_hi:[0,1,0]
	v_pk_fma_f32 v[142:143], v[72:73], v[38:39], v[102:103] op_sel:[0,0,1] op_sel_hi:[1,1,0] neg_lo:[0,0,1] neg_hi:[0,0,1]
	v_pk_fma_f32 v[72:73], v[72:73], v[38:39], v[102:103] op_sel:[0,0,1] op_sel_hi:[0,1,0]
	v_mov_b32_e32 v141, v71
	v_pk_add_f32 v[50:51], v[52:53], v[50:51]
	v_pk_add_f32 v[70:71], v[126:127], v[144:145]
	v_pk_mul_f32 v[52:53], v[252:253], s[28:29] op_sel:[1,0] op_sel_hi:[0,0]
	v_mov_b32_e32 v129, v59
	v_mov_b32_e32 v143, v73
	;; [unrolled: 1-line block ×3, first 2 shown]
	v_pk_fma_f32 v[16:17], v[70:71], s[26:27], v[52:53] op_sel_hi:[1,0,1]
	v_pk_fma_f32 v[168:169], v[70:71], s[26:27], v[52:53] op_sel_hi:[1,0,1] neg_lo:[0,0,1] neg_hi:[0,0,1]
	v_pk_mul_f32 v[90:91], v[60:61], v[26:27] op_sel:[1,0]
	v_mov_b32_e32 v52, v16
	v_mov_b32_e32 v53, v169
	v_pk_add_f32 v[114:115], v[128:129], v[142:143] neg_lo:[0,1] neg_hi:[0,1]
	v_pk_fma_f32 v[130:131], v[60:61], v[26:27], v[90:91] op_sel:[0,0,1] op_sel_hi:[1,1,0] neg_lo:[0,0,1] neg_hi:[0,0,1]
	v_pk_fma_f32 v[60:61], v[60:61], v[26:27], v[90:91] op_sel:[0,0,1] op_sel_hi:[0,1,0]
	v_pk_add_f32 v[50:51], v[52:53], v[50:51]
	v_pk_add_f32 v[72:73], v[128:129], v[142:143]
	v_pk_mul_f32 v[52:53], v[114:115], s[46:47] op_sel:[1,0] op_sel_hi:[0,0]
	v_mov_b32_e32 v131, v61
	v_accvgpr_write_b32 a53, v17
	v_pk_fma_f32 v[16:17], v[72:73], s[22:23], v[52:53] op_sel_hi:[1,0,1]
	v_pk_fma_f32 v[172:173], v[72:73], s[22:23], v[52:53] op_sel_hi:[1,0,1] neg_lo:[0,0,1] neg_hi:[0,0,1]
	v_mov_b32_e32 v52, v16
	v_mov_b32_e32 v53, v173
	v_pk_add_f32 v[106:107], v[130:131], v[140:141] neg_lo:[0,1] neg_hi:[0,1]
	v_pk_add_f32 v[50:51], v[52:53], v[50:51]
	v_pk_add_f32 v[74:75], v[130:131], v[140:141]
	v_pk_mul_f32 v[52:53], v[106:107], s[50:51] op_sel:[1,0] op_sel_hi:[0,0]
	v_accvgpr_write_b32 a55, v17
	v_pk_fma_f32 v[16:17], v[74:75], s[18:19], v[52:53] op_sel_hi:[1,0,1]
	v_pk_fma_f32 v[176:177], v[74:75], s[18:19], v[52:53] op_sel_hi:[1,0,1] neg_lo:[0,0,1] neg_hi:[0,0,1]
	v_mov_b32_e32 v52, v16
	v_mov_b32_e32 v53, v177
	v_pk_add_f32 v[174:175], v[132:133], v[138:139] neg_lo:[0,1] neg_hi:[0,1]
	v_pk_add_f32 v[50:51], v[52:53], v[50:51]
	v_pk_add_f32 v[76:77], v[132:133], v[138:139]
	v_pk_mul_f32 v[52:53], v[174:175], s[24:25] op_sel:[1,0] op_sel_hi:[0,0]
	v_accvgpr_write_b32 a57, v17
	v_pk_fma_f32 v[16:17], v[76:77], s[20:21], v[52:53] op_sel_hi:[1,0,1]
	v_pk_fma_f32 v[182:183], v[76:77], s[20:21], v[52:53] op_sel_hi:[1,0,1] neg_lo:[0,0,1] neg_hi:[0,0,1]
	v_mov_b32_e32 v52, v16
	v_mov_b32_e32 v53, v183
	v_pk_add_f32 v[50:51], v[52:53], v[50:51]
	v_pk_mul_f32 v[52:53], v[178:179], s[48:49] op_sel:[1,0] op_sel_hi:[0,0]
	v_accvgpr_write_b32 a59, v17
	v_pk_fma_f32 v[16:17], v[62:63], s[20:21], v[52:53] op_sel_hi:[1,0,1]
	v_pk_fma_f32 v[186:187], v[62:63], s[20:21], v[52:53] op_sel_hi:[1,0,1] neg_lo:[0,0,1] neg_hi:[0,0,1]
	v_pk_mul_f32 v[54:55], v[224:225], s[16:17] op_sel:[1,0] op_sel_hi:[0,0]
	v_accvgpr_write_b32 a61, v17
	v_mov_b32_e32 v52, v16
	v_mov_b32_e32 v53, v187
	v_pk_fma_f32 v[16:17], v[64:65], s[14:15], v[54:55] op_sel_hi:[1,0,1]
	v_pk_fma_f32 v[190:191], v[64:65], s[14:15], v[54:55] op_sel_hi:[1,0,1] neg_lo:[0,0,1] neg_hi:[0,0,1]
	v_pk_add_f32 v[52:53], v[48:49], v[52:53]
	v_mov_b32_e32 v54, v16
	v_mov_b32_e32 v55, v191
	v_pk_add_f32 v[52:53], v[54:55], v[52:53]
	v_pk_mul_f32 v[54:55], v[238:239], s[34:35] op_sel:[1,0] op_sel_hi:[0,0]
	v_accvgpr_write_b32 a63, v17
	v_pk_fma_f32 v[16:17], v[68:69], s[26:27], v[54:55] op_sel_hi:[1,0,1]
	v_pk_fma_f32 v[194:195], v[68:69], s[26:27], v[54:55] op_sel_hi:[1,0,1] neg_lo:[0,0,1] neg_hi:[0,0,1]
	v_mov_b32_e32 v54, v16
	v_mov_b32_e32 v55, v195
	v_pk_add_f32 v[52:53], v[54:55], v[52:53]
	v_pk_mul_f32 v[54:55], v[252:253], s[50:51] op_sel:[1,0] op_sel_hi:[0,0]
	v_accvgpr_write_b32 a65, v17
	v_pk_fma_f32 v[16:17], v[70:71], s[18:19], v[54:55] op_sel_hi:[1,0,1]
	v_pk_fma_f32 v[198:199], v[70:71], s[18:19], v[54:55] op_sel_hi:[1,0,1] neg_lo:[0,0,1] neg_hi:[0,0,1]
	v_mov_b32_e32 v54, v16
	v_mov_b32_e32 v55, v199
	s_mov_b32 s34, 0x3f2c7751
	v_pk_add_f32 v[52:53], v[54:55], v[52:53]
	v_pk_mul_f32 v[54:55], v[114:115], s[34:35] op_sel:[1,0] op_sel_hi:[0,0]
	v_accvgpr_write_b32 a67, v17
	v_pk_fma_f32 v[16:17], v[72:73], s[12:13], v[54:55] op_sel_hi:[1,0,1]
	v_pk_fma_f32 v[202:203], v[72:73], s[12:13], v[54:55] op_sel_hi:[1,0,1] neg_lo:[0,0,1] neg_hi:[0,0,1]
	v_mov_b32_e32 v54, v16
	v_mov_b32_e32 v55, v203
	v_pk_add_f32 v[52:53], v[54:55], v[52:53]
	v_pk_mul_f32 v[54:55], v[106:107], s[52:53] op_sel:[1,0] op_sel_hi:[0,0]
	v_accvgpr_write_b32 a69, v17
	v_pk_fma_f32 v[16:17], v[74:75], s[36:37], v[54:55] op_sel_hi:[1,0,1]
	v_pk_fma_f32 v[206:207], v[74:75], s[36:37], v[54:55] op_sel_hi:[1,0,1] neg_lo:[0,0,1] neg_hi:[0,0,1]
	v_pk_mul_f32 v[96:97], v[66:67], v[32:33] op_sel:[1,0]
	v_mov_b32_e32 v54, v16
	v_mov_b32_e32 v55, v207
	v_pk_fma_f32 v[136:137], v[66:67], v[32:33], v[96:97] op_sel:[0,0,1] op_sel_hi:[1,1,0] neg_lo:[0,0,1] neg_hi:[0,0,1]
	v_pk_fma_f32 v[66:67], v[66:67], v[32:33], v[96:97] op_sel:[0,0,1] op_sel_hi:[0,1,0]
	v_pk_add_f32 v[52:53], v[54:55], v[52:53]
	v_pk_mul_f32 v[54:55], v[174:175], s[30:31] op_sel:[1,0] op_sel_hi:[0,0]
	v_mov_b32_e32 v137, v67
	v_accvgpr_write_b32 a71, v17
	v_pk_fma_f32 v[16:17], v[76:77], s[10:11], v[54:55] op_sel_hi:[1,0,1]
	v_pk_fma_f32 v[210:211], v[76:77], s[10:11], v[54:55] op_sel_hi:[1,0,1] neg_lo:[0,0,1] neg_hi:[0,0,1]
	v_mov_b32_e32 v54, v16
	v_mov_b32_e32 v55, v211
	v_pk_add_f32 v[120:121], v[134:135], v[136:137] neg_lo:[0,1] neg_hi:[0,1]
	v_pk_add_f32 v[54:55], v[54:55], v[52:53]
	v_pk_add_f32 v[150:151], v[134:135], v[136:137]
	v_pk_mul_f32 v[52:53], v[120:121], s[40:41] op_sel:[1,0] op_sel_hi:[0,0]
	v_accvgpr_write_b32 a73, v17
	v_pk_fma_f32 v[16:17], v[150:151], s[36:37], v[52:53] op_sel_hi:[1,0,1]
	v_pk_fma_f32 v[246:247], v[150:151], s[36:37], v[52:53] op_sel_hi:[1,0,1] neg_lo:[0,0,1] neg_hi:[0,0,1]
	v_mov_b32_e32 v52, v16
	v_mov_b32_e32 v53, v247
	v_pk_add_f32 v[52:53], v[52:53], v[50:51]
	v_pk_mul_f32 v[50:51], v[120:121], s[38:39] op_sel:[1,0] op_sel_hi:[0,0]
	v_mov_b32_e32 v187, v17
	v_pk_fma_f32 v[16:17], v[150:151], s[22:23], v[50:51] op_sel_hi:[1,0,1]
	v_pk_fma_f32 v[214:215], v[150:151], s[22:23], v[50:51] op_sel_hi:[1,0,1] neg_lo:[0,0,1] neg_hi:[0,0,1]
	v_mov_b32_e32 v50, v16
	v_mov_b32_e32 v51, v215
	v_pk_add_f32 v[50:51], v[50:51], v[54:55]
	v_pk_mul_f32 v[54:55], v[178:179], s[30:31] op_sel:[1,0] op_sel_hi:[0,0]
	v_accvgpr_write_b32 a75, v17
	v_pk_fma_f32 v[16:17], v[62:63], s[10:11], v[54:55] op_sel_hi:[1,0,1]
	v_pk_fma_f32 v[218:219], v[62:63], s[10:11], v[54:55] op_sel_hi:[1,0,1] neg_lo:[0,0,1] neg_hi:[0,0,1]
	v_pk_mul_f32 v[56:57], v[224:225], s[28:29] op_sel:[1,0] op_sel_hi:[0,0]
	v_accvgpr_write_b32 a77, v17
	v_mov_b32_e32 v54, v16
	v_mov_b32_e32 v55, v219
	v_pk_fma_f32 v[16:17], v[64:65], s[26:27], v[56:57] op_sel_hi:[1,0,1]
	v_pk_fma_f32 v[222:223], v[64:65], s[26:27], v[56:57] op_sel_hi:[1,0,1] neg_lo:[0,0,1] neg_hi:[0,0,1]
	v_pk_add_f32 v[54:55], v[48:49], v[54:55]
	v_mov_b32_e32 v56, v16
	v_mov_b32_e32 v57, v223
	v_pk_add_f32 v[54:55], v[56:57], v[54:55]
	v_pk_mul_f32 v[56:57], v[238:239], s[50:51] op_sel:[1,0] op_sel_hi:[0,0]
	v_accvgpr_write_b32 a79, v17
	v_pk_fma_f32 v[16:17], v[68:69], s[18:19], v[56:57] op_sel_hi:[1,0,1]
	v_pk_fma_f32 v[228:229], v[68:69], s[18:19], v[56:57] op_sel_hi:[1,0,1] neg_lo:[0,0,1] neg_hi:[0,0,1]
	v_mov_b32_e32 v56, v16
	v_mov_b32_e32 v57, v229
	v_pk_add_f32 v[54:55], v[56:57], v[54:55]
	v_pk_mul_f32 v[56:57], v[252:253], s[40:41] op_sel:[1,0] op_sel_hi:[0,0]
	v_accvgpr_write_b32 a81, v17
	v_pk_fma_f32 v[16:17], v[70:71], s[36:37], v[56:57] op_sel_hi:[1,0,1]
	v_pk_fma_f32 v[232:233], v[70:71], s[36:37], v[56:57] op_sel_hi:[1,0,1] neg_lo:[0,0,1] neg_hi:[0,0,1]
	;; [unrolled: 7-line block ×6, first 2 shown]
	v_pk_mul_f32 v[58:59], v[224:225], s[46:47] op_sel:[1,0] op_sel_hi:[0,0]
	v_accvgpr_write_b32 a91, v17
	v_mov_b32_e32 v56, v16
	v_mov_b32_e32 v57, v255
	v_pk_fma_f32 v[16:17], v[64:65], s[22:23], v[58:59] op_sel_hi:[1,0,1]
	v_pk_fma_f32 v[112:113], v[64:65], s[22:23], v[58:59] op_sel_hi:[1,0,1] neg_lo:[0,0,1] neg_hi:[0,0,1]
	v_pk_add_f32 v[56:57], v[48:49], v[56:57]
	v_mov_b32_e32 v58, v16
	v_mov_b32_e32 v59, v113
	v_pk_add_f32 v[56:57], v[58:59], v[56:57]
	v_pk_mul_f32 v[58:59], v[238:239], s[34:35] op_sel:[1,0] op_sel_hi:[0,0]
	v_accvgpr_write_b32 a93, v17
	v_pk_fma_f32 v[16:17], v[68:69], s[12:13], v[58:59] op_sel_hi:[1,0,1]
	v_pk_fma_f32 v[118:119], v[68:69], s[12:13], v[58:59] op_sel_hi:[1,0,1] neg_lo:[0,0,1] neg_hi:[0,0,1]
	v_mov_b32_e32 v58, v16
	v_mov_b32_e32 v59, v119
	v_pk_add_f32 v[56:57], v[58:59], v[56:57]
	v_pk_mul_f32 v[58:59], v[252:253], s[48:49] op_sel:[1,0] op_sel_hi:[0,0]
	v_accvgpr_write_b32 a95, v17
	v_pk_fma_f32 v[16:17], v[70:71], s[20:21], v[58:59] op_sel_hi:[1,0,1]
	v_pk_fma_f32 v[82:83], v[70:71], s[20:21], v[58:59] op_sel_hi:[1,0,1] neg_lo:[0,0,1] neg_hi:[0,0,1]
	;; [unrolled: 7-line block ×3, first 2 shown]
	v_mov_b32_e32 v58, v16
	v_mov_b32_e32 v59, v105
	s_mov_b32 s46, 0x3f7ee86f
	v_pk_add_f32 v[56:57], v[58:59], v[56:57]
	v_pk_mul_f32 v[58:59], v[106:107], s[46:47] op_sel:[1,0] op_sel_hi:[0,0]
	v_accvgpr_write_b32 a103, v17
	v_pk_fma_f32 v[16:17], v[74:75], s[10:11], v[58:59] op_sel_hi:[1,0,1]
	v_pk_fma_f32 v[98:99], v[74:75], s[10:11], v[58:59] op_sel_hi:[1,0,1] neg_lo:[0,0,1] neg_hi:[0,0,1]
	v_mov_b32_e32 v58, v16
	v_mov_b32_e32 v59, v99
	v_pk_add_f32 v[56:57], v[58:59], v[56:57]
	v_pk_mul_f32 v[58:59], v[174:175], s[52:53] op_sel:[1,0] op_sel_hi:[0,0]
	v_accvgpr_write_b32 a109, v17
	v_pk_fma_f32 v[16:17], v[76:77], s[36:37], v[58:59] op_sel_hi:[1,0,1]
	v_pk_fma_f32 v[166:167], v[76:77], s[36:37], v[58:59] op_sel_hi:[1,0,1] neg_lo:[0,0,1] neg_hi:[0,0,1]
	v_mov_b32_e32 v58, v16
	v_mov_b32_e32 v59, v167
	;; [unrolled: 7-line block ×3, first 2 shown]
	v_pk_add_f32 v[56:57], v[56:57], v[54:55]
	v_pk_mul_f32 v[54:55], v[120:121], s[16:17] op_sel:[1,0] op_sel_hi:[0,0]
	v_mov_b32_e32 v83, v17
	v_pk_fma_f32 v[16:17], v[150:151], s[14:15], v[54:55] op_sel_hi:[1,0,1]
	v_pk_fma_f32 v[196:197], v[150:151], s[14:15], v[54:55] op_sel_hi:[1,0,1] neg_lo:[0,0,1] neg_hi:[0,0,1]
	v_mov_b32_e32 v54, v16
	v_mov_b32_e32 v55, v197
	v_pk_add_f32 v[54:55], v[54:55], v[58:59]
	v_pk_mul_f32 v[58:59], v[178:179], s[38:39] op_sel:[1,0] op_sel_hi:[0,0]
	v_accvgpr_write_b32 a119, v17
	v_pk_fma_f32 v[16:17], v[62:63], s[22:23], v[58:59] op_sel_hi:[1,0,1]
	v_pk_fma_f32 v[154:155], v[62:63], s[22:23], v[58:59] op_sel_hi:[1,0,1] neg_lo:[0,0,1] neg_hi:[0,0,1]
	v_pk_mul_f32 v[60:61], v[224:225], s[24:25] op_sel:[1,0] op_sel_hi:[0,0]
	v_accvgpr_write_b32 a97, v17
	v_mov_b32_e32 v58, v16
	v_mov_b32_e32 v59, v155
	v_pk_fma_f32 v[16:17], v[64:65], s[20:21], v[60:61] op_sel_hi:[1,0,1]
	v_pk_fma_f32 v[86:87], v[64:65], s[20:21], v[60:61] op_sel_hi:[1,0,1] neg_lo:[0,0,1] neg_hi:[0,0,1]
	v_pk_add_f32 v[58:59], v[48:49], v[58:59]
	v_mov_b32_e32 v60, v16
	v_mov_b32_e32 v61, v87
	v_pk_add_f32 v[58:59], v[60:61], v[58:59]
	v_pk_mul_f32 v[60:61], v[238:239], s[30:31] op_sel:[1,0] op_sel_hi:[0,0]
	v_accvgpr_write_b32 a101, v17
	v_pk_fma_f32 v[16:17], v[68:69], s[10:11], v[60:61] op_sel_hi:[1,0,1]
	v_pk_fma_f32 v[94:95], v[68:69], s[10:11], v[60:61] op_sel_hi:[1,0,1] neg_lo:[0,0,1] neg_hi:[0,0,1]
	v_mov_b32_e32 v60, v16
	v_mov_b32_e32 v61, v95
	v_pk_add_f32 v[58:59], v[60:61], v[58:59]
	v_pk_mul_f32 v[60:61], v[252:253], s[54:55] op_sel:[1,0] op_sel_hi:[0,0]
	v_accvgpr_write_b32 a105, v17
	v_pk_fma_f32 v[16:17], v[70:71], s[14:15], v[60:61] op_sel_hi:[1,0,1]
	v_pk_fma_f32 v[96:97], v[70:71], s[14:15], v[60:61] op_sel_hi:[1,0,1] neg_lo:[0,0,1] neg_hi:[0,0,1]
	;; [unrolled: 7-line block ×6, first 2 shown]
	v_pk_mul_f32 v[66:67], v[224:225], s[50:51] op_sel:[1,0] op_sel_hi:[0,0]
	v_mov_b32_e32 v87, v17
	v_mov_b32_e32 v60, v16
	v_mov_b32_e32 v61, v213
	v_pk_fma_f32 v[16:17], v[64:65], s[18:19], v[66:67] op_sel_hi:[1,0,1]
	v_pk_fma_f32 v[220:221], v[64:65], s[18:19], v[66:67] op_sel_hi:[1,0,1] neg_lo:[0,0,1] neg_hi:[0,0,1]
	v_pk_add_f32 v[60:61], v[48:49], v[60:61]
	v_mov_b32_e32 v66, v16
	v_mov_b32_e32 v67, v221
	v_pk_add_f32 v[60:61], v[66:67], v[60:61]
	v_pk_mul_f32 v[66:67], v[238:239], s[52:53] op_sel:[1,0] op_sel_hi:[0,0]
	v_mov_b32_e32 v95, v17
	v_pk_fma_f32 v[16:17], v[68:69], s[36:37], v[66:67] op_sel_hi:[1,0,1]
	v_pk_fma_f32 v[240:241], v[68:69], s[36:37], v[66:67] op_sel_hi:[1,0,1] neg_lo:[0,0,1] neg_hi:[0,0,1]
	v_mov_b32_e32 v66, v16
	v_mov_b32_e32 v67, v241
	v_pk_add_f32 v[60:61], v[66:67], v[60:61]
	v_pk_mul_f32 v[66:67], v[252:253], s[38:39] op_sel:[1,0] op_sel_hi:[0,0]
	v_mov_b32_e32 v97, v17
	v_pk_fma_f32 v[16:17], v[70:71], s[22:23], v[66:67] op_sel_hi:[1,0,1]
	v_pk_fma_f32 v[248:249], v[70:71], s[22:23], v[66:67] op_sel_hi:[1,0,1] neg_lo:[0,0,1] neg_hi:[0,0,1]
	;; [unrolled: 7-line block ×6, first 2 shown]
	v_mov_b32_e32 v66, v16
	v_mov_b32_e32 v67, v109
	v_pk_add_f32 v[60:61], v[66:67], v[60:61]
	v_pk_mul_f32 v[66:67], v[120:121], s[44:45] op_sel:[1,0] op_sel_hi:[0,0]
	v_accvgpr_write_b32 a123, v17
	v_pk_fma_f32 v[16:17], v[150:151], s[18:19], v[66:67] op_sel_hi:[1,0,1]
	v_pk_fma_f32 v[226:227], v[150:151], s[18:19], v[66:67] op_sel_hi:[1,0,1] neg_lo:[0,0,1] neg_hi:[0,0,1]
	v_mov_b32_e32 v66, v16
	v_mov_b32_e32 v67, v227
	v_pk_add_f32 v[58:59], v[66:67], v[58:59]
	v_pk_mul_f32 v[66:67], v[178:179], s[52:53] op_sel:[1,0] op_sel_hi:[0,0]
	v_pk_fma_f32 v[170:171], v[62:63], s[36:37], v[66:67] op_sel_hi:[1,0,1]
	v_pk_fma_f32 v[102:103], v[62:63], s[36:37], v[66:67] op_sel_hi:[1,0,1] neg_lo:[0,0,1] neg_hi:[0,0,1]
	v_pk_mul_f32 v[88:89], v[224:225], s[42:43] op_sel:[1,0] op_sel_hi:[0,0]
	v_mov_b32_e32 v66, v170
	v_mov_b32_e32 v67, v103
	v_pk_fma_f32 v[192:193], v[64:65], s[12:13], v[88:89] op_sel_hi:[1,0,1]
	v_pk_fma_f32 v[184:185], v[64:65], s[12:13], v[88:89] op_sel_hi:[1,0,1] neg_lo:[0,0,1] neg_hi:[0,0,1]
	v_pk_add_f32 v[66:67], v[48:49], v[66:67]
	v_mov_b32_e32 v88, v192
	v_mov_b32_e32 v89, v185
	v_pk_mul_f32 v[90:91], v[238:239], s[48:49] op_sel:[1,0] op_sel_hi:[0,0]
	v_pk_add_f32 v[88:89], v[88:89], v[66:67]
	v_pk_fma_f32 v[66:67], v[68:69], s[20:21], v[90:91] op_sel_hi:[1,0,1]
	v_pk_fma_f32 v[200:201], v[68:69], s[20:21], v[90:91] op_sel_hi:[1,0,1] neg_lo:[0,0,1] neg_hi:[0,0,1]
	v_mov_b32_e32 v90, v66
	v_mov_b32_e32 v91, v201
	v_pk_add_f32 v[88:89], v[90:91], v[88:89]
	v_pk_mul_f32 v[90:91], v[252:253], s[30:31] op_sel:[1,0] op_sel_hi:[0,0]
	v_pk_fma_f32 v[216:217], v[70:71], s[10:11], v[90:91] op_sel_hi:[1,0,1]
	v_pk_fma_f32 v[208:209], v[70:71], s[10:11], v[90:91] op_sel_hi:[1,0,1] neg_lo:[0,0,1] neg_hi:[0,0,1]
	v_mov_b32_e32 v90, v216
	v_mov_b32_e32 v91, v209
	v_pk_add_f32 v[88:89], v[90:91], v[88:89]
	v_pk_mul_f32 v[90:91], v[114:115], s[44:45] op_sel:[1,0] op_sel_hi:[0,0]
	v_pk_fma_f32 v[234:235], v[72:73], s[18:19], v[90:91] op_sel_hi:[1,0,1]
	v_pk_fma_f32 v[230:231], v[72:73], s[18:19], v[90:91] op_sel_hi:[1,0,1] neg_lo:[0,0,1] neg_hi:[0,0,1]
	v_mov_b32_e32 v90, v234
	v_mov_b32_e32 v91, v231
	v_pk_mul_f32 v[110:111], v[106:107], s[16:17] op_sel:[1,0] op_sel_hi:[0,0]
	v_pk_add_f32 v[88:89], v[90:91], v[88:89]
	v_pk_fma_f32 v[90:91], v[74:75], s[14:15], v[110:111] op_sel_hi:[1,0,1]
	v_pk_fma_f32 v[244:245], v[74:75], s[14:15], v[110:111] op_sel_hi:[1,0,1] neg_lo:[0,0,1] neg_hi:[0,0,1]
	v_mov_b32_e32 v110, v90
	v_mov_b32_e32 v111, v245
	v_pk_mul_f32 v[158:159], v[174:175], s[38:39] op_sel:[1,0] op_sel_hi:[0,0]
	v_pk_add_f32 v[110:111], v[110:111], v[88:89]
	v_pk_fma_f32 v[88:89], v[76:77], s[22:23], v[158:159] op_sel_hi:[1,0,1]
	v_pk_fma_f32 v[158:159], v[76:77], s[22:23], v[158:159] op_sel_hi:[1,0,1] neg_lo:[0,0,1] neg_hi:[0,0,1]
	v_mov_b32_e32 v162, v88
	v_mov_b32_e32 v163, v159
	v_pk_mul_f32 v[18:19], v[120:121], s[28:29] op_sel:[1,0] op_sel_hi:[0,0]
	v_accvgpr_write_b32 a121, v17
	v_pk_add_f32 v[16:17], v[162:163], v[110:111]
	v_pk_fma_f32 v[110:111], v[150:151], s[26:27], v[18:19] op_sel_hi:[1,0,1]
	v_pk_fma_f32 v[162:163], v[150:151], s[26:27], v[18:19] op_sel_hi:[1,0,1] neg_lo:[0,0,1] neg_hi:[0,0,1]
	v_mov_b32_e32 v18, v110
	v_mov_b32_e32 v19, v163
	v_pk_add_f32 v[16:17], v[18:19], v[16:17]
	s_nop 0
	v_accvgpr_write_b32 a51, v17
	v_accvgpr_write_b32 a50, v16
	s_and_saveexec_b64 s[30:31], s[0:1]
	s_cbranch_execz .LBB0_5
; %bb.4:
	v_mov_b32_e32 v161, v23
	v_pk_add_f32 v[22:23], v[48:49], v[152:153]
	v_mov_b32_e32 v103, v171
	v_pk_add_f32 v[22:23], v[22:23], v[122:123]
	;; [unrolled: 2-line block ×11, first 2 shown]
	v_accvgpr_read_b32 v187, a61
	v_pk_add_f32 v[22:23], v[22:23], v[142:143]
	v_accvgpr_read_b32 v191, a63
	v_pk_add_f32 v[22:23], v[22:23], v[144:145]
	v_mov_b32_e32 v165, v81
	v_pk_add_f32 v[22:23], v[22:23], v[78:79]
	v_pk_add_f32 v[78:79], v[48:49], v[102:103]
	;; [unrolled: 1-line block ×6, first 2 shown]
	v_accvgpr_read_b32 v195, a65
	v_pk_add_f32 v[66:67], v[208:209], v[66:67]
	v_accvgpr_read_b32 v169, a53
	v_pk_add_f32 v[66:67], v[230:231], v[66:67]
	;; [unrolled: 2-line block ×5, first 2 shown]
	ds_write2_b64 v80, v[22:23], v[66:67] offset1:50
	v_pk_add_f32 v[22:23], v[48:49], v[156:157]
	v_pk_add_f32 v[66:67], v[48:49], v[186:187]
	;; [unrolled: 1-line block ×9, first 2 shown]
	v_accvgpr_read_b32 v177, a57
	v_pk_add_f32 v[66:67], v[202:203], v[66:67]
	v_accvgpr_read_b32 v207, a71
	v_pk_add_f32 v[22:23], v[176:177], v[22:23]
	;; [unrolled: 2-line block ×4, first 2 shown]
	v_pk_add_f32 v[66:67], v[210:211], v[66:67]
	v_accvgpr_read_b32 v215, a75
	v_pk_add_f32 v[22:23], v[246:247], v[22:23]
	v_pk_add_f32 v[66:67], v[214:215], v[66:67]
	v_accvgpr_read_b32 v219, a77
	v_accvgpr_read_b32 v255, a91
	ds_write2_b64 v80, v[22:23], v[66:67] offset0:100 offset1:150
	v_pk_add_f32 v[22:23], v[48:49], v[218:219]
	v_accvgpr_read_b32 v223, a79
	v_pk_add_f32 v[66:67], v[48:49], v[254:255]
	v_accvgpr_read_b32 v113, a93
	;; [unrolled: 2-line block ×5, first 2 shown]
	v_mov_b32_e32 v205, v83
	v_pk_add_f32 v[66:67], v[118:119], v[66:67]
	v_accvgpr_read_b32 v83, a99
	v_pk_add_f32 v[22:23], v[232:233], v[22:23]
	v_accvgpr_read_b32 v237, a85
	;; [unrolled: 2-line block ×7, first 2 shown]
	v_pk_add_f32 v[22:23], v[250:251], v[22:23]
	v_pk_add_f32 v[66:67], v[166:167], v[66:67]
	v_accvgpr_read_b32 v197, a119
	v_pk_add_f32 v[22:23], v[204:205], v[22:23]
	v_pk_add_f32 v[66:67], v[196:197], v[66:67]
	v_mov_b32_e32 v213, v87
	v_mov_b32_e32 v117, v155
	v_accvgpr_read_b32 v155, a97
	ds_write2_b64 v80, v[22:23], v[66:67] offset0:200 offset1:250
	v_pk_add_f32 v[22:23], v[48:49], v[212:213]
	v_mov_b32_e32 v221, v95
	v_pk_add_f32 v[66:67], v[48:49], v[154:155]
	v_accvgpr_read_b32 v87, a101
	v_pk_add_f32 v[22:23], v[220:221], v[22:23]
	v_mov_b32_e32 v241, v97
	v_pk_add_f32 v[66:67], v[86:87], v[66:67]
	v_accvgpr_read_b32 v95, a105
	;; [unrolled: 4-line block ×3, first 2 shown]
	v_pk_add_f32 v[22:23], v[248:249], v[22:23]
	v_pk_add_f32 v[66:67], v[96:97], v[66:67]
	v_accvgpr_read_b32 v101, a111
	v_pk_add_f32 v[22:23], v[116:117], v[22:23]
	v_mov_b32_e32 v85, v181
	v_pk_add_f32 v[66:67], v[100:101], v[66:67]
	v_accvgpr_read_b32 v181, a115
	v_pk_add_f32 v[22:23], v[84:85], v[22:23]
	v_mov_b32_e32 v93, v189
	v_pk_add_f32 v[66:67], v[180:181], v[66:67]
	v_accvgpr_read_b32 v189, a117
	v_mov_b32_e32 v16, v179
	v_mov_b32_e32 v17, v178
	v_pk_add_f32 v[22:23], v[92:93], v[22:23]
	v_accvgpr_read_b32 v109, a123
	v_pk_add_f32 v[66:67], v[188:189], v[66:67]
	v_accvgpr_read_b32 v227, a121
	v_mov_b32_e32 v18, v225
	v_mov_b32_e32 v19, v224
	v_pk_add_f32 v[22:23], v[108:109], v[22:23]
	v_pk_add_f32 v[66:67], v[226:227], v[66:67]
	v_add_u32_e32 v81, 0x800, v80
	v_pk_mul_f32 v[16:17], v[16:17], s[28:29] op_sel_hi:[1,0]
	ds_write2_b64 v81, v[22:23], v[66:67] offset0:44 offset1:94
	v_pk_fma_f32 v[22:23], v[62:63], s[26:27], v[16:17] op_sel_hi:[1,0,1] neg_lo:[0,0,1] neg_hi:[0,0,1]
	v_pk_fma_f32 v[16:17], v[62:63], s[26:27], v[16:17] op_sel_hi:[1,0,1]
	v_pk_mul_f32 v[18:19], v[18:19], s[40:41] op_sel_hi:[1,0]
	v_mov_b32_e32 v20, v239
	v_mov_b32_e32 v21, v238
	v_mov_b32_e32 v62, v22
	v_mov_b32_e32 v63, v17
	v_pk_fma_f32 v[66:67], v[64:65], s[36:37], v[18:19] op_sel_hi:[1,0,1] neg_lo:[0,0,1] neg_hi:[0,0,1]
	v_pk_fma_f32 v[18:19], v[64:65], s[36:37], v[18:19] op_sel_hi:[1,0,1]
	v_pk_add_f32 v[62:63], v[48:49], v[62:63]
	v_mov_b32_e32 v64, v66
	v_mov_b32_e32 v65, v19
	v_pk_mul_f32 v[20:21], v[20:21], s[38:39] op_sel_hi:[1,0]
	v_pk_add_f32 v[62:63], v[64:65], v[62:63]
	v_pk_fma_f32 v[64:65], v[68:69], s[22:23], v[20:21] op_sel_hi:[1,0,1] neg_lo:[0,0,1] neg_hi:[0,0,1]
	v_pk_fma_f32 v[20:21], v[68:69], s[22:23], v[20:21] op_sel_hi:[1,0,1]
	v_mov_b32_e32 v238, v253
	v_mov_b32_e32 v239, v252
	;; [unrolled: 1-line block ×4, first 2 shown]
	v_pk_add_f32 v[62:63], v[68:69], v[62:63]
	v_pk_mul_f32 v[68:69], v[238:239], s[34:35] op_sel_hi:[1,0]
	v_mov_b32_e32 v224, v115
	v_pk_fma_f32 v[78:79], v[70:71], s[12:13], v[68:69] op_sel_hi:[1,0,1] neg_lo:[0,0,1] neg_hi:[0,0,1]
	v_pk_fma_f32 v[68:69], v[70:71], s[12:13], v[68:69] op_sel_hi:[1,0,1]
	v_mov_b32_e32 v225, v114
	v_mov_b32_e32 v70, v78
	v_mov_b32_e32 v71, v69
	v_pk_add_f32 v[62:63], v[70:71], v[62:63]
	v_pk_mul_f32 v[70:71], v[224:225], s[16:17] op_sel_hi:[1,0]
	v_mov_b32_e32 v178, v107
	v_pk_fma_f32 v[82:83], v[72:73], s[14:15], v[70:71] op_sel_hi:[1,0,1] neg_lo:[0,0,1] neg_hi:[0,0,1]
	v_pk_fma_f32 v[70:71], v[72:73], s[14:15], v[70:71] op_sel_hi:[1,0,1]
	v_mov_b32_e32 v179, v106
	v_mov_b32_e32 v72, v82
	v_mov_b32_e32 v73, v71
	;; [unrolled: 8-line block ×3, first 2 shown]
	v_mov_b32_e32 v75, v73
	v_pk_add_f32 v[16:17], v[48:49], v[16:17]
	v_mov_b32_e32 v19, v67
	v_pk_add_f32 v[62:63], v[74:75], v[62:63]
	v_pk_mul_f32 v[74:75], v[114:115], s[44:45] op_sel_hi:[1,0]
	v_pk_add_f32 v[16:17], v[18:19], v[16:17]
	v_mov_b32_e32 v21, v65
	v_pk_fma_f32 v[86:87], v[76:77], s[18:19], v[74:75] op_sel_hi:[1,0,1] neg_lo:[0,0,1] neg_hi:[0,0,1]
	v_pk_fma_f32 v[74:75], v[76:77], s[18:19], v[74:75] op_sel_hi:[1,0,1]
	v_pk_add_f32 v[16:17], v[20:21], v[16:17]
	v_mov_b32_e32 v69, v79
	v_mov_b32_e32 v106, v121
	v_mov_b32_e32 v107, v120
	v_mov_b32_e32 v76, v86
	v_mov_b32_e32 v77, v75
	v_pk_add_f32 v[16:17], v[68:69], v[16:17]
	v_mov_b32_e32 v71, v83
	v_pk_add_f32 v[62:63], v[76:77], v[62:63]
	v_pk_mul_f32 v[76:77], v[106:107], s[46:47] op_sel_hi:[1,0]
	v_pk_add_f32 v[16:17], v[70:71], v[16:17]
	v_mov_b32_e32 v73, v85
	v_pk_fma_f32 v[88:89], v[150:151], s[10:11], v[76:77] op_sel_hi:[1,0,1] neg_lo:[0,0,1] neg_hi:[0,0,1]
	v_pk_fma_f32 v[76:77], v[150:151], s[10:11], v[76:77] op_sel_hi:[1,0,1]
	v_pk_add_f32 v[16:17], v[72:73], v[16:17]
	v_mov_b32_e32 v75, v87
	v_mov_b32_e32 v90, v88
	v_mov_b32_e32 v91, v77
	v_pk_add_f32 v[16:17], v[74:75], v[16:17]
	v_mov_b32_e32 v77, v89
	v_pk_add_f32 v[62:63], v[90:91], v[62:63]
	v_pk_add_f32 v[16:17], v[76:77], v[16:17]
	ds_write2_b64 v81, v[62:63], v[16:17] offset0:144 offset1:194
	v_add_u32_e32 v16, 0xc00, v80
	ds_write2_b64 v16, v[58:59], v[60:61] offset0:116 offset1:166
	v_add_u32_e32 v16, 0x1000, v80
	ds_write2_b64 v16, v[54:55], v[56:57] offset0:88 offset1:138
	ds_write2_b64 v16, v[50:51], v[52:53] offset0:188 offset1:238
	ds_write_b64 v80, a[50:51] offset:6400
.LBB0_5:
	s_or_b64 exec, exec, s[30:31]
	v_accvgpr_read_b32 v81, a37
	v_lshl_add_u64 v[16:17], s[8:9], 0, v[80:81]
	s_mov_b64 s[8:9], 0x1a90
	v_lshl_add_u64 v[18:19], v[16:17], 0, s[8:9]
	s_waitcnt lgkmcnt(0)
	s_barrier
	global_load_dwordx2 v[22:23], v[18:19], off offset:680
	v_add_co_u32_e32 v20, vcc, 0x1000, v16
	s_movk_i32 s8, 0x2000
	s_nop 0
	v_addc_co_u32_e32 v21, vcc, 0, v17, vcc
	global_load_dwordx2 v[66:67], v[20:21], off offset:2704
	global_load_dwordx2 v[82:83], v[18:19], off offset:1360
	;; [unrolled: 1-line block ×5, first 2 shown]
	v_add_co_u32_e32 v20, vcc, s8, v16
	s_movk_i32 s8, 0x3000
	s_nop 0
	v_addc_co_u32_e32 v21, vcc, 0, v17, vcc
	v_add_co_u32_e32 v16, vcc, s8, v16
	global_load_dwordx2 v[90:91], v[20:21], off offset:3368
	global_load_dwordx2 v[92:93], v[18:19], off offset:4080
	;; [unrolled: 1-line block ×3, first 2 shown]
	v_addc_co_u32_e32 v17, vcc, 0, v17, vcc
	global_load_dwordx2 v[16:17], v[16:17], off offset:632
	ds_read2_b64 v[62:65], v80 offset1:85
	v_add_u32_e32 v49, 0x800, v80
	v_add_u32_e32 v48, 0xc00, v80
	s_mov_b32 s8, 0x3f737871
	s_mov_b32 s10, 0x3f167918
	;; [unrolled: 1-line block ×5, first 2 shown]
	s_waitcnt vmcnt(9) lgkmcnt(0)
	v_mul_f32_e32 v18, v65, v23
	v_mul_f32_e32 v19, v64, v23
	s_waitcnt vmcnt(8)
	v_mul_f32_e32 v20, v63, v67
	v_mul_f32_e32 v21, v62, v67
	v_fma_f32 v18, v64, v22, -v18
	v_fmac_f32_e32 v19, v65, v22
	v_fma_f32 v20, v62, v66, -v20
	v_fmac_f32_e32 v21, v63, v66
	ds_write2_b64 v80, v[20:21], v[18:19] offset1:85
	ds_read2_b64 v[62:65], v80 offset0:170 offset1:255
	v_add_u32_e32 v66, 0x1000, v80
	ds_read2_b64 v[68:71], v49 offset0:84 offset1:169
	ds_read2_b64 v[72:75], v48 offset0:126 offset1:211
	;; [unrolled: 1-line block ×3, first 2 shown]
	s_waitcnt vmcnt(7) lgkmcnt(3)
	v_mul_f32_e32 v18, v63, v83
	v_mul_f32_e32 v19, v62, v83
	s_waitcnt vmcnt(6)
	v_mul_f32_e32 v20, v65, v85
	v_mul_f32_e32 v21, v64, v85
	s_waitcnt vmcnt(4) lgkmcnt(2)
	v_mul_f32_e32 v67, v71, v89
	v_mul_f32_e32 v83, v70, v89
	s_waitcnt vmcnt(2) lgkmcnt(1)
	v_mul_f32_e32 v81, v73, v93
	v_mul_f32_e32 v85, v72, v93
	;; [unrolled: 1-line block ×6, first 2 shown]
	s_waitcnt vmcnt(1) lgkmcnt(0)
	v_mul_f32_e32 v96, v77, v95
	v_mul_f32_e32 v89, v76, v95
	s_waitcnt vmcnt(0)
	v_mul_f32_e32 v95, v79, v17
	v_mul_f32_e32 v91, v78, v17
	v_fma_f32 v18, v62, v82, -v18
	v_fmac_f32_e32 v19, v63, v82
	v_fma_f32 v20, v64, v84, -v20
	v_fmac_f32_e32 v21, v65, v84
	;; [unrolled: 2-line block ×8, first 2 shown]
	ds_write2_b64 v80, v[18:19], v[20:21] offset0:170 offset1:255
	ds_write2_b64 v49, v[22:23], v[82:83] offset0:84 offset1:169
	;; [unrolled: 1-line block ×4, first 2 shown]
	s_waitcnt lgkmcnt(0)
	s_barrier
	ds_read2_b64 v[62:65], v80 offset1:85
	ds_read2_b64 v[68:71], v80 offset0:170 offset1:255
	ds_read2_b64 v[72:75], v66 offset0:168 offset1:253
	;; [unrolled: 1-line block ×4, first 2 shown]
	s_waitcnt lgkmcnt(0)
	v_mov_b32_e32 v22, v70
	v_pk_add_f32 v[90:91], v[68:69], v[72:73] neg_lo:[0,1] neg_hi:[0,1]
	v_pk_add_f32 v[98:99], v[68:69], v[76:77] neg_lo:[0,1] neg_hi:[0,1]
	v_pk_add_f32 v[88:89], v[76:77], v[82:83]
	v_pk_mul_f32 v[92:93], v[90:91], s[8:9] op_sel_hi:[1,0]
	v_pk_fma_f32 v[88:89], v[88:89], 0.5, v[62:63] op_sel_hi:[1,0,1] neg_lo:[1,0,0] neg_hi:[1,0,0]
	v_pk_add_f32 v[94:95], v[76:77], v[82:83] neg_lo:[0,1] neg_hi:[0,1]
	v_pk_add_f32 v[100:101], v[72:73], v[82:83] neg_lo:[0,1] neg_hi:[0,1]
	v_pk_mul_f32 v[96:97], v[94:95], s[10:11] op_sel_hi:[1,0]
	v_pk_add_f32 v[98:99], v[98:99], v[100:101]
	v_pk_add_f32 v[100:101], v[88:89], v[92:93] op_sel:[0,1] op_sel_hi:[1,0] neg_lo:[0,1] neg_hi:[0,1]
	v_pk_add_f32 v[88:89], v[88:89], v[92:93] op_sel:[0,1] op_sel_hi:[1,0]
	v_mov_b32_e32 v20, v78
	v_pk_add_f32 v[92:93], v[88:89], v[96:97] op_sel:[0,1] op_sel_hi:[1,0]
	v_pk_add_f32 v[96:97], v[100:101], v[96:97] op_sel:[0,1] op_sel_hi:[1,0] neg_lo:[0,1] neg_hi:[0,1]
	v_mov_b32_e32 v21, v84
	v_mov_b32_e32 v23, v74
	;; [unrolled: 1-line block ×4, first 2 shown]
	v_pk_add_f32 v[18:19], v[70:71], v[74:75]
	v_pk_add_f32 v[20:21], v[20:21], v[22:23] neg_lo:[0,1] neg_hi:[0,1]
	v_pk_add_f32 v[22:23], v[64:65], v[70:71]
	v_pk_fma_f32 v[100:101], v[98:99], s[12:13], v[88:89] op_sel_hi:[1,0,1]
	v_pk_add_f32 v[88:89], v[78:79], v[84:85]
	v_fma_f32 v67, -0.5, v18, v64
	v_mov_b32_e32 v18, v21
	v_pk_add_f32 v[22:23], v[22:23], v[78:79]
	v_fma_f32 v81, -0.5, v19, v65
	v_pk_fma_f32 v[64:65], v[88:89], 0.5, v[64:65] op_sel_hi:[1,0,1] neg_lo:[1,0,0] neg_hi:[1,0,0]
	v_pk_add_f32 v[88:89], v[70:71], v[74:75] neg_lo:[0,1] neg_hi:[0,1]
	v_pk_add_f32 v[20:21], v[20:21], v[18:19]
	v_pk_add_f32 v[22:23], v[22:23], v[84:85]
	v_mov_b32_e32 v18, v79
	v_mov_b32_e32 v19, v85
	v_mov_b32_e32 v86, v71
	v_mov_b32_e32 v87, v75
	v_pk_mul_f32 v[102:103], v[88:89], s[8:9] op_sel_hi:[1,0]
	v_pk_add_f32 v[106:107], v[78:79], v[84:85] neg_lo:[0,1] neg_hi:[0,1]
	v_pk_add_f32 v[22:23], v[22:23], v[74:75]
	v_pk_add_f32 v[18:19], v[18:19], v[86:87] neg_lo:[0,1] neg_hi:[0,1]
	v_pk_add_f32 v[104:105], v[64:65], v[102:103] op_sel:[0,1] op_sel_hi:[1,0]
	v_pk_mul_f32 v[108:109], v[106:107], s[10:11] op_sel_hi:[1,0]
	v_pk_add_f32 v[70:71], v[70:71], v[78:79] neg_lo:[0,1] neg_hi:[0,1]
	v_pk_add_f32 v[74:75], v[74:75], v[84:85] neg_lo:[0,1] neg_hi:[0,1]
	v_mov_b32_e32 v86, v19
	v_pk_add_f32 v[104:105], v[108:109], v[104:105] op_sel:[1,0] op_sel_hi:[0,1]
	v_pk_add_f32 v[70:71], v[70:71], v[74:75]
	v_pk_add_f32 v[18:19], v[18:19], v[86:87]
	v_pk_fma_f32 v[74:75], v[70:71], s[12:13], v[104:105] op_sel_hi:[1,0,1]
	v_mov_b32_e32 v21, v89
	s_mov_b32 s13, s10
	v_pk_add_f32 v[64:65], v[64:65], v[102:103] op_sel:[0,1] op_sel_hi:[1,0] neg_lo:[0,1] neg_hi:[0,1]
	v_fmamk_f32 v19, v107, 0x3f737871, v67
	v_pk_mul_f32 v[20:21], v[20:21], s[12:13]
	v_pk_add_f32 v[64:65], v[64:65], v[108:109] op_sel:[0,1] op_sel_hi:[1,0] neg_lo:[0,1] neg_hi:[0,1]
	v_sub_f32_e32 v19, v19, v21
	v_fmac_f32_e32 v67, 0xbf737871, v107
	v_mov_b32_e32 v104, v64
	v_pk_add_f32 v[16:17], v[62:63], v[68:69]
	v_add_f32_e32 v78, v20, v19
	v_add_f32_e32 v19, v21, v67
	v_pk_fma_f32 v[84:85], v[70:71], s[12:13], v[104:105] op_sel_hi:[1,0,1]
	v_pk_add_f32 v[16:17], v[16:17], v[76:77]
	v_add_f32_e32 v20, v20, v19
	v_mov_b32_e32 v19, v88
	v_pk_mul_f32 v[88:89], v[84:85], s[10:11] op_sel_hi:[1,0]
	v_pk_add_f32 v[16:17], v[16:17], v[82:83]
	v_pk_fma_f32 v[102:103], v[84:85], s[14:15], v[88:89] op_sel:[0,0,1] op_sel_hi:[1,0,0] neg_lo:[0,0,1] neg_hi:[0,0,1]
	v_pk_fma_f32 v[84:85], v[84:85], s[14:15], v[88:89] op_sel:[0,0,1] op_sel_hi:[1,0,0]
	v_pk_add_f32 v[16:17], v[16:17], v[72:73]
	v_mov_b32_e32 v103, v85
	v_pk_add_f32 v[84:85], v[68:69], v[72:73]
	v_pk_add_f32 v[68:69], v[76:77], v[68:69] neg_lo:[0,1] neg_hi:[0,1]
	v_pk_add_f32 v[72:73], v[82:83], v[72:73] neg_lo:[0,1] neg_hi:[0,1]
	v_pk_fma_f32 v[62:63], v[84:85], 0.5, v[62:63] op_sel_hi:[1,0,1] neg_lo:[1,0,0] neg_hi:[1,0,0]
	v_pk_add_f32 v[68:69], v[68:69], v[72:73]
	v_pk_mul_f32 v[72:73], v[94:95], s[8:9] op_sel_hi:[1,0]
	v_fmamk_f32 v21, v106, 0xbf737871, v81
	v_pk_mul_f32 v[18:19], v[18:19], s[12:13]
	v_pk_mul_f32 v[76:77], v[90:91], s[10:11] op_sel_hi:[1,0]
	v_pk_add_f32 v[82:83], v[62:63], v[72:73] op_sel:[0,1] op_sel_hi:[1,0]
	v_pk_add_f32 v[62:63], v[62:63], v[72:73] op_sel:[0,1] op_sel_hi:[1,0] neg_lo:[0,1] neg_hi:[0,1]
	v_add_f32_e32 v21, v19, v21
	v_fmac_f32_e32 v81, 0x3f737871, v106
	v_pk_add_f32 v[72:73], v[62:63], v[76:77] op_sel:[0,1] op_sel_hi:[1,0]
	v_pk_add_f32 v[76:77], v[82:83], v[76:77] op_sel:[0,1] op_sel_hi:[1,0] neg_lo:[0,1] neg_hi:[0,1]
	v_pk_fma_f32 v[70:71], v[70:71], s[12:13], v[64:65] op_sel_hi:[1,0,1]
	v_add_f32_e32 v64, v18, v21
	v_sub_f32_e32 v19, v81, v19
	v_mov_b32_e32 v62, v76
	v_mov_b32_e32 v63, v73
	s_mov_b32 s9, s12
	v_add_f32_e32 v18, v18, v19
	v_pk_fma_f32 v[82:83], v[68:69], s[12:13], v[62:63] op_sel_hi:[1,0,1]
	s_mov_b32 s13, s8
	v_pk_mul_f32 v[62:63], v[64:65], s[8:9] op_sel_hi:[0,1]
	v_pk_fma_f32 v[84:85], v[78:79], s[12:13], v[62:63] neg_lo:[0,0,1] neg_hi:[0,0,1]
	v_pk_fma_f32 v[62:63], v[78:79], s[12:13], v[62:63] op_sel_hi:[0,1,1]
	s_mov_b32 s14, 0xbe9e377a
	s_mov_b32 s15, s8
	v_pk_mul_f32 v[18:19], v[18:19], s[8:9] op_sel_hi:[0,1]
	v_mov_b32_e32 v73, v77
	v_mov_b32_e32 v85, v63
	v_pk_fma_f32 v[18:19], v[20:21], s[14:15], v[18:19] op_sel_hi:[0,1,1] neg_lo:[0,0,1] neg_hi:[0,0,1]
	v_pk_fma_f32 v[20:21], v[68:69], s[12:13], v[72:73] op_sel_hi:[1,0,1]
	s_mov_b32 s14, 0xbf4f1bbd
	v_accvgpr_read_b32 v67, a22
	v_pk_add_f32 v[62:63], v[82:83], v[84:85]
	v_pk_add_f32 v[64:65], v[20:21], v[18:19]
	s_mov_b32 s17, s14
	s_barrier
	ds_write_b128 v67, v[62:65] offset:16
	v_mov_b32_e32 v93, v97
	s_mov_b32 s15, s10
	v_pk_mul_f32 v[62:63], v[70:71], s[16:17] op_sel:[1,0]
	v_pk_fma_f32 v[68:69], v[98:99], s[12:13], v[92:93] op_sel_hi:[1,0,1]
	v_pk_fma_f32 v[70:71], v[74:75], s[14:15], v[62:63] op_sel_hi:[0,1,1]
	v_pk_add_f32 v[62:63], v[68:69], v[70:71]
	v_pk_add_f32 v[64:65], v[16:17], v[22:23] neg_lo:[0,1] neg_hi:[0,1]
	ds_write_b128 v67, v[62:65] offset:32
	v_pk_add_f32 v[62:63], v[100:101], v[102:103] neg_lo:[0,1] neg_hi:[0,1]
	v_pk_add_f32 v[64:65], v[82:83], v[84:85] neg_lo:[0,1] neg_hi:[0,1]
	v_pk_add_f32 v[86:87], v[16:17], v[22:23]
	v_pk_add_f32 v[88:89], v[100:101], v[102:103]
	ds_write_b128 v67, v[62:65] offset:48
	v_pk_add_f32 v[62:63], v[20:21], v[18:19] neg_lo:[0,1] neg_hi:[0,1]
	v_pk_add_f32 v[64:65], v[68:69], v[70:71] neg_lo:[0,1] neg_hi:[0,1]
	v_accvgpr_read_b32 v16, a48
	ds_write_b128 v67, v[86:89]
	ds_write_b128 v67, v[62:65] offset:64
	s_waitcnt lgkmcnt(0)
	s_barrier
	ds_read2_b64 v[62:65], v80 offset0:170 offset1:255
	ds_read2_b64 v[68:71], v80 offset1:85
	ds_read2_b64 v[72:75], v49 offset0:84 offset1:169
	ds_read2_b64 v[76:79], v48 offset0:126 offset1:211
	;; [unrolled: 1-line block ×3, first 2 shown]
	v_accvgpr_read_b32 v17, a49
	s_waitcnt lgkmcnt(4)
	v_pk_mul_f32 v[16:17], v[16:17], v[62:63]
	s_waitcnt lgkmcnt(0)
	v_pk_fma_f32 v[18:19], v[4:5], v[62:63], v[16:17] op_sel:[0,0,1] op_sel_hi:[1,1,0]
	v_pk_fma_f32 v[4:5], v[4:5], v[62:63], v[16:17] op_sel:[0,0,1] op_sel_hi:[1,1,0] neg_lo:[0,0,1] neg_hi:[0,0,1]
	s_barrier
	v_mov_b32_e32 v19, v5
	v_accvgpr_read_b32 v4, a28
	v_accvgpr_read_b32 v5, a29
	v_pk_mul_f32 v[4:5], v[4:5], v[72:73]
	s_nop 0
	v_pk_fma_f32 v[16:17], v[6:7], v[72:73], v[4:5] op_sel:[0,0,1] op_sel_hi:[1,1,0]
	v_pk_fma_f32 v[4:5], v[6:7], v[72:73], v[4:5] op_sel:[0,0,1] op_sel_hi:[1,1,0] neg_lo:[0,0,1] neg_hi:[0,0,1]
	s_nop 0
	v_mov_b32_e32 v17, v5
	v_accvgpr_read_b32 v4, a46
	v_accvgpr_read_b32 v5, a47
	v_pk_mul_f32 v[4:5], v[4:5], v[76:77]
	s_nop 0
	v_pk_fma_f32 v[6:7], v[0:1], v[76:77], v[4:5] op_sel:[0,0,1] op_sel_hi:[1,1,0]
	v_pk_fma_f32 v[0:1], v[0:1], v[76:77], v[4:5] op_sel:[0,0,1] op_sel_hi:[1,1,0] neg_lo:[0,0,1] neg_hi:[0,0,1]
	s_nop 0
	v_mov_b32_e32 v7, v1
	v_accvgpr_read_b32 v0, a30
	v_accvgpr_read_b32 v1, a31
	v_pk_mul_f32 v[0:1], v[0:1], v[82:83]
	v_pk_add_f32 v[22:23], v[16:17], v[6:7] neg_lo:[0,1] neg_hi:[0,1]
	v_pk_fma_f32 v[4:5], v[2:3], v[82:83], v[0:1] op_sel:[0,0,1] op_sel_hi:[1,1,0]
	v_pk_fma_f32 v[0:1], v[2:3], v[82:83], v[0:1] op_sel:[0,0,1] op_sel_hi:[1,1,0] neg_lo:[0,0,1] neg_hi:[0,0,1]
	s_nop 0
	v_mov_b32_e32 v5, v1
	v_pk_add_f32 v[0:1], v[16:17], v[6:7]
	v_pk_add_f32 v[20:21], v[18:19], v[4:5] neg_lo:[0,1] neg_hi:[0,1]
	v_pk_fma_f32 v[2:3], v[0:1], 0.5, v[68:69] op_sel_hi:[1,0,1] neg_lo:[1,0,0] neg_hi:[1,0,0]
	v_pk_add_f32 v[0:1], v[18:19], v[16:17] neg_lo:[0,1] neg_hi:[0,1]
	v_pk_add_f32 v[62:63], v[4:5], v[6:7] neg_lo:[0,1] neg_hi:[0,1]
	v_pk_fma_f32 v[72:73], v[20:21], s[8:9], v[2:3] op_sel:[1,0,0] op_sel_hi:[0,0,1] neg_lo:[1,0,0] neg_hi:[1,0,0]
	v_pk_add_f32 v[62:63], v[0:1], v[62:63]
	v_pk_add_f32 v[0:1], v[68:69], v[18:19]
	v_pk_fma_f32 v[2:3], v[20:21], s[8:9], v[2:3] op_sel:[1,0,0] op_sel_hi:[0,0,1]
	v_pk_add_f32 v[0:1], v[0:1], v[16:17]
	v_pk_fma_f32 v[76:77], v[22:23], s[10:11], v[2:3] op_sel:[1,0,0] op_sel_hi:[0,0,1]
	v_pk_fma_f32 v[72:73], v[22:23], s[10:11], v[72:73] op_sel:[1,0,0] op_sel_hi:[0,0,1] neg_lo:[1,0,0] neg_hi:[1,0,0]
	v_pk_add_f32 v[0:1], v[0:1], v[6:7]
	v_mov_b32_e32 v2, v72
	v_mov_b32_e32 v3, v77
	;; [unrolled: 1-line block ×3, first 2 shown]
	v_pk_add_f32 v[72:73], v[18:19], v[4:5]
	v_pk_add_f32 v[0:1], v[0:1], v[4:5]
	v_pk_fma_f32 v[68:69], v[72:73], 0.5, v[68:69] op_sel_hi:[1,0,1] neg_lo:[1,0,0] neg_hi:[1,0,0]
	v_pk_add_f32 v[16:17], v[16:17], v[18:19] neg_lo:[0,1] neg_hi:[0,1]
	v_pk_add_f32 v[4:5], v[6:7], v[4:5] neg_lo:[0,1] neg_hi:[0,1]
	v_pk_fma_f32 v[2:3], v[62:63], s[12:13], v[2:3] op_sel_hi:[1,0,1]
	v_pk_add_f32 v[6:7], v[16:17], v[4:5]
	v_pk_fma_f32 v[4:5], v[22:23], s[8:9], v[68:69] op_sel:[1,0,0] op_sel_hi:[0,0,1]
	v_pk_fma_f32 v[16:17], v[22:23], s[8:9], v[68:69] op_sel:[1,0,0] op_sel_hi:[0,0,1] neg_lo:[1,0,0] neg_hi:[1,0,0]
	v_pk_fma_f32 v[16:17], v[20:21], s[10:11], v[16:17] op_sel:[1,0,0] op_sel_hi:[0,0,1]
	v_pk_fma_f32 v[18:19], v[20:21], s[10:11], v[4:5] op_sel:[1,0,0] op_sel_hi:[0,0,1] neg_lo:[1,0,0] neg_hi:[1,0,0]
	v_mov_b32_e32 v4, v18
	v_mov_b32_e32 v5, v17
	;; [unrolled: 1-line block ×3, first 2 shown]
	v_pk_fma_f32 v[4:5], v[6:7], s[12:13], v[4:5] op_sel_hi:[1,0,1]
	v_pk_fma_f32 v[6:7], v[6:7], s[12:13], v[16:17] op_sel_hi:[1,0,1]
	v_accvgpr_read_b32 v16, a44
	v_accvgpr_read_b32 v17, a45
	v_pk_mul_f32 v[16:17], v[16:17], v[64:65]
	v_pk_fma_f32 v[62:63], v[62:63], s[12:13], v[76:77] op_sel_hi:[1,0,1]
	v_pk_fma_f32 v[18:19], v[8:9], v[64:65], v[16:17] op_sel:[0,0,1] op_sel_hi:[1,1,0]
	v_pk_fma_f32 v[8:9], v[8:9], v[64:65], v[16:17] op_sel:[0,0,1] op_sel_hi:[1,1,0] neg_lo:[0,0,1] neg_hi:[0,0,1]
	s_nop 0
	v_mov_b32_e32 v19, v9
	v_accvgpr_read_b32 v8, a24
	v_accvgpr_read_b32 v9, a25
	v_pk_mul_f32 v[8:9], v[8:9], v[74:75]
	s_nop 0
	v_pk_fma_f32 v[16:17], v[10:11], v[74:75], v[8:9] op_sel:[0,0,1] op_sel_hi:[1,1,0]
	v_pk_fma_f32 v[8:9], v[10:11], v[74:75], v[8:9] op_sel:[0,0,1] op_sel_hi:[1,1,0] neg_lo:[0,0,1] neg_hi:[0,0,1]
	s_nop 0
	v_mov_b32_e32 v17, v9
	v_accvgpr_read_b32 v8, a42
	v_accvgpr_read_b32 v9, a43
	v_pk_mul_f32 v[8:9], v[8:9], v[78:79]
	s_nop 0
	v_pk_fma_f32 v[10:11], v[12:13], v[78:79], v[8:9] op_sel:[0,0,1] op_sel_hi:[1,1,0]
	v_pk_fma_f32 v[8:9], v[12:13], v[78:79], v[8:9] op_sel:[0,0,1] op_sel_hi:[1,1,0] neg_lo:[0,0,1] neg_hi:[0,0,1]
	s_nop 0
	v_mov_b32_e32 v11, v9
	v_accvgpr_read_b32 v8, a26
	v_accvgpr_read_b32 v9, a27
	v_pk_mul_f32 v[8:9], v[8:9], v[84:85]
	v_pk_add_f32 v[22:23], v[16:17], v[10:11] neg_lo:[0,1] neg_hi:[0,1]
	v_pk_fma_f32 v[12:13], v[14:15], v[84:85], v[8:9] op_sel:[0,0,1] op_sel_hi:[1,1,0]
	v_pk_fma_f32 v[8:9], v[14:15], v[84:85], v[8:9] op_sel:[0,0,1] op_sel_hi:[1,1,0] neg_lo:[0,0,1] neg_hi:[0,0,1]
	v_pk_add_f32 v[14:15], v[18:19], v[16:17] neg_lo:[0,1] neg_hi:[0,1]
	v_mov_b32_e32 v13, v9
	v_pk_add_f32 v[8:9], v[16:17], v[10:11]
	v_pk_add_f32 v[20:21], v[18:19], v[12:13] neg_lo:[0,1] neg_hi:[0,1]
	v_pk_fma_f32 v[8:9], v[8:9], 0.5, v[70:71] op_sel_hi:[1,0,1] neg_lo:[1,0,0] neg_hi:[1,0,0]
	v_pk_add_f32 v[64:65], v[12:13], v[10:11] neg_lo:[0,1] neg_hi:[0,1]
	v_pk_fma_f32 v[68:69], v[20:21], s[8:9], v[8:9] op_sel:[1,0,0] op_sel_hi:[0,0,1] neg_lo:[1,0,0] neg_hi:[1,0,0]
	v_pk_fma_f32 v[8:9], v[20:21], s[8:9], v[8:9] op_sel:[1,0,0] op_sel_hi:[0,0,1]
	v_pk_add_f32 v[14:15], v[14:15], v[64:65]
	v_pk_add_f32 v[64:65], v[70:71], v[18:19]
	v_pk_fma_f32 v[72:73], v[22:23], s[10:11], v[8:9] op_sel:[1,0,0] op_sel_hi:[0,0,1]
	v_pk_fma_f32 v[68:69], v[22:23], s[10:11], v[68:69] op_sel:[1,0,0] op_sel_hi:[0,0,1] neg_lo:[1,0,0] neg_hi:[1,0,0]
	v_pk_add_f32 v[64:65], v[64:65], v[16:17]
	v_mov_b32_e32 v8, v68
	v_mov_b32_e32 v9, v73
	;; [unrolled: 1-line block ×3, first 2 shown]
	v_pk_add_f32 v[68:69], v[18:19], v[12:13]
	v_pk_add_f32 v[64:65], v[64:65], v[10:11]
	v_pk_fma_f32 v[68:69], v[68:69], 0.5, v[70:71] op_sel_hi:[1,0,1] neg_lo:[1,0,0] neg_hi:[1,0,0]
	v_pk_add_f32 v[16:17], v[16:17], v[18:19] neg_lo:[0,1] neg_hi:[0,1]
	v_pk_add_f32 v[10:11], v[10:11], v[12:13] neg_lo:[0,1] neg_hi:[0,1]
	v_pk_add_f32 v[64:65], v[64:65], v[12:13]
	v_pk_add_f32 v[12:13], v[16:17], v[10:11]
	v_pk_fma_f32 v[10:11], v[22:23], s[8:9], v[68:69] op_sel:[1,0,0] op_sel_hi:[0,0,1]
	v_pk_fma_f32 v[16:17], v[22:23], s[8:9], v[68:69] op_sel:[1,0,0] op_sel_hi:[0,0,1] neg_lo:[1,0,0] neg_hi:[1,0,0]
	v_pk_fma_f32 v[16:17], v[20:21], s[10:11], v[16:17] op_sel:[1,0,0] op_sel_hi:[0,0,1]
	v_pk_fma_f32 v[18:19], v[20:21], s[10:11], v[10:11] op_sel:[1,0,0] op_sel_hi:[0,0,1] neg_lo:[1,0,0] neg_hi:[1,0,0]
	v_mov_b32_e32 v10, v18
	v_mov_b32_e32 v11, v17
	;; [unrolled: 1-line block ×3, first 2 shown]
	v_pk_fma_f32 v[10:11], v[12:13], s[12:13], v[10:11] op_sel_hi:[1,0,1]
	v_pk_fma_f32 v[12:13], v[12:13], s[12:13], v[16:17] op_sel_hi:[1,0,1]
	v_accvgpr_read_b32 v16, a23
	v_pk_fma_f32 v[8:9], v[14:15], s[12:13], v[8:9] op_sel_hi:[1,0,1]
	v_pk_fma_f32 v[14:15], v[14:15], s[12:13], v[72:73] op_sel_hi:[1,0,1]
	ds_write2_b64 v16, v[0:1], v[2:3] offset1:10
	ds_write2_b64 v16, v[4:5], v[6:7] offset0:20 offset1:30
	ds_write_b64 v16, v[62:63] offset:320
	v_accvgpr_read_b32 v16, a36
	ds_write2_b64 v16, v[64:65], v[8:9] offset1:10
	ds_write2_b64 v16, v[10:11], v[12:13] offset0:20 offset1:30
	ds_write_b64 v16, v[14:15] offset:320
	s_waitcnt lgkmcnt(0)
	s_barrier
	s_and_saveexec_b64 s[8:9], s[0:1]
	s_cbranch_execz .LBB0_7
; %bb.6:
	ds_read2_b64 v[0:3], v80 offset1:50
	ds_read2_b64 v[4:7], v80 offset0:100 offset1:150
	ds_read2_b64 v[62:65], v80 offset0:200 offset1:250
	;; [unrolled: 1-line block ×7, first 2 shown]
	ds_read_b64 a[50:51], v80 offset:6400
.LBB0_7:
	s_or_b64 exec, exec, s[8:9]
	s_and_saveexec_b64 s[8:9], s[0:1]
	s_cbranch_execz .LBB0_9
; %bb.8:
	s_waitcnt lgkmcnt(0)
	v_accvgpr_read_b32 v101, a51
	v_accvgpr_read_b32 v100, a50
	v_pk_mul_f32 v[16:17], v[46:47], v[100:101] op_sel:[0,1]
	v_pk_mul_f32 v[20:21], v[44:45], v[52:53] op_sel:[0,1]
	v_pk_fma_f32 v[90:91], v[46:47], v[100:101], v[16:17] op_sel:[0,0,1] op_sel_hi:[1,1,0]
	v_pk_fma_f32 v[16:17], v[46:47], v[100:101], v[16:17] op_sel:[0,0,1] op_sel_hi:[1,0,0] neg_lo:[1,0,0] neg_hi:[1,0,0]
	v_pk_mul_f32 v[48:49], v[42:43], v[50:51] op_sel:[0,1]
	v_mov_b32_e32 v91, v17
	v_pk_fma_f32 v[46:47], v[44:45], v[52:53], v[20:21] op_sel:[0,0,1] op_sel_hi:[1,1,0]
	v_pk_fma_f32 v[16:17], v[44:45], v[52:53], v[20:21] op_sel:[0,0,1] op_sel_hi:[1,0,0] neg_lo:[1,0,0] neg_hi:[1,0,0]
	v_pk_mul_f32 v[68:69], v[40:41], v[56:57] op_sel:[0,1]
	v_mov_b32_e32 v47, v17
	v_pk_fma_f32 v[44:45], v[42:43], v[50:51], v[48:49] op_sel:[0,0,1] op_sel_hi:[1,1,0]
	v_pk_fma_f32 v[16:17], v[42:43], v[50:51], v[48:49] op_sel:[0,0,1] op_sel_hi:[1,0,0] neg_lo:[1,0,0] neg_hi:[1,0,0]
	v_accvgpr_read_b32 v95, a35
	v_pk_mul_f32 v[72:73], v[38:39], v[54:55] op_sel:[0,1]
	v_pk_mul_f32 v[78:79], v[26:27], v[8:9] op_sel:[0,1]
	v_mov_b32_e32 v45, v17
	v_pk_fma_f32 v[42:43], v[40:41], v[56:57], v[68:69] op_sel:[0,0,1] op_sel_hi:[1,1,0]
	v_pk_fma_f32 v[16:17], v[40:41], v[56:57], v[68:69] op_sel:[0,0,1] op_sel_hi:[1,0,0] neg_lo:[1,0,0] neg_hi:[1,0,0]
	v_accvgpr_read_b32 v93, a33
	v_accvgpr_read_b32 v92, a32
	v_pk_mul_f32 v[76:77], v[36:37], v[60:61] op_sel:[0,1]
	v_pk_mul_f32 v[84:85], v[28:29], v[10:11] op_sel:[0,1]
	v_mov_b32_e32 v43, v17
	v_pk_fma_f32 v[40:41], v[38:39], v[54:55], v[72:73] op_sel:[0,0,1] op_sel_hi:[1,1,0]
	v_pk_fma_f32 v[16:17], v[38:39], v[54:55], v[72:73] op_sel:[0,0,1] op_sel_hi:[1,0,0] neg_lo:[1,0,0] neg_hi:[1,0,0]
	v_pk_fma_f32 v[50:51], v[26:27], v[8:9], v[78:79] op_sel:[0,0,1] op_sel_hi:[1,1,0]
	v_pk_fma_f32 v[8:9], v[26:27], v[8:9], v[78:79] op_sel:[0,0,1] op_sel_hi:[1,0,0] neg_lo:[1,0,0] neg_hi:[1,0,0]
	v_accvgpr_read_b32 v94, a34
	v_pk_mul_f32 v[18:19], v[92:93], v[2:3] op_sel:[0,1]
	v_accvgpr_read_b32 v99, a41
	v_pk_mul_f32 v[82:83], v[34:35], v[58:59] op_sel:[0,1]
	v_pk_mul_f32 v[88:89], v[30:31], v[12:13] op_sel_hi:[1,0]
	v_mov_b32_e32 v41, v17
	v_pk_fma_f32 v[38:39], v[36:37], v[60:61], v[76:77] op_sel:[0,0,1] op_sel_hi:[1,1,0]
	v_pk_fma_f32 v[16:17], v[36:37], v[60:61], v[76:77] op_sel:[0,0,1] op_sel_hi:[1,0,0] neg_lo:[1,0,0] neg_hi:[1,0,0]
	v_mov_b32_e32 v51, v9
	v_pk_fma_f32 v[52:53], v[28:29], v[10:11], v[84:85] op_sel:[0,0,1] op_sel_hi:[1,1,0]
	v_pk_fma_f32 v[8:9], v[28:29], v[10:11], v[84:85] op_sel:[0,0,1] op_sel_hi:[1,0,0] neg_lo:[1,0,0] neg_hi:[1,0,0]
	v_pk_mul_f32 v[22:23], v[94:95], v[4:5] op_sel:[0,1]
	v_accvgpr_read_b32 v97, a39
	v_accvgpr_read_b32 v96, a38
	v_pk_mul_f32 v[86:87], v[32:33], v[14:15] op_sel:[0,1]
	v_mov_b32_e32 v39, v17
	v_pk_fma_f32 v[36:37], v[34:35], v[58:59], v[82:83] op_sel:[0,0,1] op_sel_hi:[1,1,0]
	v_pk_fma_f32 v[16:17], v[34:35], v[58:59], v[82:83] op_sel:[0,0,1] op_sel_hi:[1,0,0] neg_lo:[1,0,0] neg_hi:[1,0,0]
	v_pk_fma_f32 v[34:35], v[30:31], v[12:13], v[88:89] op_sel:[1,1,0] op_sel_hi:[0,1,1]
	v_pk_fma_f32 v[12:13], v[30:31], v[12:13], v[88:89] op_sel:[1,1,0] op_sel_hi:[0,1,1] neg_lo:[0,0,1] neg_hi:[0,0,1]
	v_mov_b32_e32 v53, v9
	v_pk_fma_f32 v[8:9], v[92:93], v[2:3], v[18:19] op_sel:[0,0,1] op_sel_hi:[1,1,0]
	v_pk_fma_f32 v[2:3], v[92:93], v[2:3], v[18:19] op_sel:[0,0,1] op_sel_hi:[1,0,0] neg_lo:[1,0,0] neg_hi:[1,0,0]
	v_accvgpr_read_b32 v98, a40
	v_pk_mul_f32 v[66:67], v[96:97], v[6:7] op_sel_hi:[1,0]
	v_mov_b32_e32 v35, v13
	v_pk_fma_f32 v[48:49], v[32:33], v[14:15], v[86:87] op_sel:[0,0,1] op_sel_hi:[1,1,0]
	v_pk_fma_f32 v[12:13], v[32:33], v[14:15], v[86:87] op_sel:[0,0,1] op_sel_hi:[1,0,0] neg_lo:[1,0,0] neg_hi:[1,0,0]
	v_mov_b32_e32 v9, v3
	v_pk_fma_f32 v[2:3], v[94:95], v[4:5], v[22:23] op_sel:[0,0,1] op_sel_hi:[1,1,0]
	v_pk_fma_f32 v[4:5], v[94:95], v[4:5], v[22:23] op_sel:[0,0,1] op_sel_hi:[1,0,0] neg_lo:[1,0,0] neg_hi:[1,0,0]
	v_pk_mul_f32 v[70:71], v[98:99], v[62:63] op_sel:[0,1]
	v_mov_b32_e32 v49, v13
	v_pk_fma_f32 v[12:13], v[96:97], v[6:7], v[66:67] op_sel:[1,1,0] op_sel_hi:[0,1,1]
	v_pk_fma_f32 v[6:7], v[96:97], v[6:7], v[66:67] op_sel:[1,1,0] op_sel_hi:[0,1,1] neg_lo:[0,0,1] neg_hi:[0,0,1]
	v_mov_b32_e32 v3, v5
	v_pk_add_f32 v[4:5], v[0:1], v[8:9]
	v_pk_mul_f32 v[74:75], v[24:25], v[64:65] op_sel:[0,1]
	v_mov_b32_e32 v13, v7
	v_pk_fma_f32 v[6:7], v[98:99], v[62:63], v[70:71] op_sel:[0,0,1] op_sel_hi:[1,1,0]
	v_pk_fma_f32 v[14:15], v[98:99], v[62:63], v[70:71] op_sel:[0,0,1] op_sel_hi:[1,0,0] neg_lo:[1,0,0] neg_hi:[1,0,0]
	v_pk_add_f32 v[4:5], v[2:3], v[4:5]
	v_mov_b32_e32 v37, v17
	v_mov_b32_e32 v7, v15
	v_pk_fma_f32 v[14:15], v[24:25], v[64:65], v[74:75] op_sel:[0,0,1] op_sel_hi:[1,1,0]
	v_pk_fma_f32 v[16:17], v[24:25], v[64:65], v[74:75] op_sel:[0,0,1] op_sel_hi:[1,0,0] neg_lo:[1,0,0] neg_hi:[1,0,0]
	v_pk_add_f32 v[4:5], v[12:13], v[4:5]
	v_mov_b32_e32 v15, v17
	v_pk_add_f32 v[4:5], v[6:7], v[4:5]
	v_pk_add_f32 v[136:137], v[8:9], v[90:91] neg_lo:[0,1] neg_hi:[0,1]
	s_mov_b32 s24, 0xbeb8f4ab
	v_pk_add_f32 v[54:55], v[14:15], v[4:5]
	v_pk_add_f32 v[130:131], v[90:91], v[8:9]
	v_pk_add_f32 v[128:129], v[2:3], v[46:47] neg_lo:[0,1] neg_hi:[0,1]
	s_mov_b32 s14, 0x3f6eb680
	v_pk_mul_f32 v[4:5], v[136:137], s[24:25] op_sel_hi:[1,0]
	s_mov_b32 s38, 0xbf2c7751
	v_pk_add_f32 v[122:123], v[46:47], v[2:3]
	v_pk_add_f32 v[106:107], v[42:43], v[6:7]
	v_pk_add_f32 v[108:109], v[6:7], v[42:43] neg_lo:[0,1] neg_hi:[0,1]
	v_pk_fma_f32 v[6:7], v[130:131], s[14:15], v[4:5] op_sel:[0,0,1] op_sel_hi:[1,0,0]
	v_pk_fma_f32 v[118:119], v[130:131], s[14:15], v[4:5] op_sel:[0,0,1] op_sel_hi:[1,0,0] neg_lo:[0,0,1] neg_hi:[0,0,1]
	s_mov_b32 s12, 0x3f3d2fb0
	v_pk_mul_f32 v[8:9], v[128:129], s[38:39] op_sel_hi:[1,0]
	v_pk_add_f32 v[110:111], v[44:45], v[12:13]
	v_pk_add_f32 v[116:117], v[12:13], v[44:45] neg_lo:[0,1] neg_hi:[0,1]
	v_mov_b32_e32 v81, v7
	v_mov_b32_e32 v7, v119
	v_pk_fma_f32 v[12:13], v[122:123], s[12:13], v[8:9] op_sel:[0,0,1] op_sel_hi:[1,0,0]
	v_pk_fma_f32 v[112:113], v[122:123], s[12:13], v[8:9] op_sel:[0,0,1] op_sel_hi:[1,0,0] neg_lo:[0,0,1] neg_hi:[0,0,1]
	v_pk_add_f32 v[10:11], v[0:1], v[6:7]
	v_accvgpr_write_b32 a23, v13
	v_mov_b32_e32 v13, v113
	s_mov_b32 s44, 0xbf65296c
	v_pk_add_f32 v[78:79], v[40:41], v[14:15]
	v_pk_add_f32 v[104:105], v[14:15], v[40:41] neg_lo:[0,1] neg_hi:[0,1]
	v_pk_add_f32 v[14:15], v[12:13], v[10:11]
	s_mov_b32 s10, 0x3ee437d1
	v_pk_mul_f32 v[12:13], v[116:117], s[44:45] op_sel_hi:[1,0]
	s_mov_b32 s34, 0xbf7ee86f
	v_pk_fma_f32 v[16:17], v[110:111], s[10:11], v[12:13] op_sel:[0,0,1] op_sel_hi:[1,0,0]
	v_pk_fma_f32 v[12:13], v[110:111], s[10:11], v[12:13] op_sel:[0,0,1] op_sel_hi:[1,0,0] neg_lo:[0,0,1] neg_hi:[0,0,1]
	v_accvgpr_write_b32 a25, v17
	v_mov_b32_e32 v17, v13
	v_pk_add_f32 v[18:19], v[16:17], v[14:15]
	s_mov_b32 s0, 0x3dbcf732
	v_pk_mul_f32 v[16:17], v[108:109], s[34:35] op_sel_hi:[1,0]
	s_mov_b32 s18, 0xbf763a35
	v_pk_fma_f32 v[20:21], v[106:107], s[0:1], v[16:17] op_sel:[0,0,1] op_sel_hi:[1,0,0]
	v_pk_fma_f32 v[16:17], v[106:107], s[0:1], v[16:17] op_sel:[0,0,1] op_sel_hi:[1,0,0] neg_lo:[0,0,1] neg_hi:[0,0,1]
	v_accvgpr_write_b32 a27, v21
	v_mov_b32_e32 v21, v17
	v_pk_add_f32 v[22:23], v[20:21], v[18:19]
	s_mov_b32 s16, 0xbe8c1d8e
	v_pk_mul_f32 v[20:21], v[104:105], s[18:19] op_sel_hi:[1,0]
	v_pk_add_f32 v[74:75], v[38:39], v[50:51]
	v_pk_fma_f32 v[24:25], v[78:79], s[16:17], v[20:21] op_sel:[0,0,1] op_sel_hi:[1,0,0]
	v_pk_fma_f32 v[20:21], v[78:79], s[16:17], v[20:21] op_sel:[0,0,1] op_sel_hi:[1,0,0] neg_lo:[0,0,1] neg_hi:[0,0,1]
	v_pk_add_f32 v[76:77], v[50:51], v[38:39] neg_lo:[0,1] neg_hi:[0,1]
	v_accvgpr_write_b32 a29, v25
	v_mov_b32_e32 v25, v21
	s_mov_b32 s22, 0xbf4c4adb
	v_pk_add_f32 v[50:51], v[50:51], v[54:55]
	v_pk_add_f32 v[26:27], v[24:25], v[22:23]
	s_mov_b32 s20, 0xbf1a4643
	v_pk_mul_f32 v[24:25], v[76:77], s[22:23] op_sel_hi:[1,0]
	v_pk_add_f32 v[50:51], v[52:53], v[50:51]
	v_pk_add_f32 v[66:67], v[48:49], v[34:35]
	v_pk_add_f32 v[68:69], v[34:35], v[48:49] neg_lo:[0,1] neg_hi:[0,1]
	v_pk_fma_f32 v[22:23], v[74:75], s[20:21], v[24:25] op_sel:[0,0,1] op_sel_hi:[1,0,0]
	v_pk_fma_f32 v[24:25], v[74:75], s[20:21], v[24:25] op_sel:[0,0,1] op_sel_hi:[1,0,0] neg_lo:[0,0,1] neg_hi:[0,0,1]
	v_pk_add_f32 v[34:35], v[34:35], v[50:51]
	v_pk_add_f32 v[72:73], v[52:53], v[36:37] neg_lo:[0,1] neg_hi:[0,1]
	v_mov_b32_e32 v28, v22
	v_mov_b32_e32 v29, v25
	s_mov_b32 s28, 0xbf06c442
	v_pk_add_f32 v[34:35], v[48:49], v[34:35]
	v_pk_add_f32 v[70:71], v[36:37], v[52:53]
	v_pk_add_f32 v[30:31], v[28:29], v[26:27]
	s_mov_b32 s26, 0xbf59a7d5
	v_pk_mul_f32 v[28:29], v[72:73], s[28:29] op_sel_hi:[1,0]
	v_pk_add_f32 v[34:35], v[36:37], v[34:35]
	v_pk_fma_f32 v[26:27], v[70:71], s[26:27], v[28:29] op_sel:[0,0,1] op_sel_hi:[1,0,0]
	v_pk_fma_f32 v[28:29], v[70:71], s[26:27], v[28:29] op_sel:[0,0,1] op_sel_hi:[1,0,0] neg_lo:[0,0,1] neg_hi:[0,0,1]
	v_pk_add_f32 v[34:35], v[38:39], v[34:35]
	v_mov_b32_e32 v32, v26
	v_mov_b32_e32 v33, v29
	s_mov_b32 s36, 0xbe3c28d5
	v_pk_add_f32 v[34:35], v[40:41], v[34:35]
	v_pk_add_f32 v[56:57], v[32:33], v[30:31]
	s_mov_b32 s30, 0xbf7ba420
	v_pk_mul_f32 v[32:33], v[68:69], s[36:37] op_sel_hi:[1,0]
	v_pk_add_f32 v[34:35], v[42:43], v[34:35]
	v_pk_fma_f32 v[30:31], v[66:67], s[30:31], v[32:33] op_sel:[0,0,1] op_sel_hi:[1,0,0]
	v_pk_fma_f32 v[32:33], v[66:67], s[30:31], v[32:33] op_sel:[0,0,1] op_sel_hi:[1,0,0] neg_lo:[0,0,1] neg_hi:[0,0,1]
	v_pk_add_f32 v[34:35], v[44:45], v[34:35]
	v_mov_b32_e32 v58, v30
	v_mov_b32_e32 v59, v33
	v_pk_add_f32 v[34:35], v[46:47], v[34:35]
	v_pk_add_f32 v[56:57], v[58:59], v[56:57]
	;; [unrolled: 1-line block ×3, first 2 shown]
	v_pk_mul_f32 v[36:37], v[136:137], s[38:39] op_sel_hi:[1,0]
	ds_write2_b64 v80, v[34:35], v[56:57] offset1:50
	v_pk_fma_f32 v[34:35], v[130:131], s[12:13], v[36:37] op_sel:[0,0,1] op_sel_hi:[1,0,0]
	v_pk_fma_f32 v[36:37], v[130:131], s[12:13], v[36:37] op_sel:[0,0,1] op_sel_hi:[1,0,0] neg_lo:[0,0,1] neg_hi:[0,0,1]
	v_mov_b32_e32 v38, v34
	v_mov_b32_e32 v39, v37
	v_pk_mul_f32 v[40:41], v[128:129], s[34:35] op_sel_hi:[1,0]
	v_pk_add_f32 v[42:43], v[0:1], v[38:39]
	v_pk_fma_f32 v[38:39], v[122:123], s[0:1], v[40:41] op_sel:[0,0,1] op_sel_hi:[1,0,0]
	v_pk_fma_f32 v[40:41], v[122:123], s[0:1], v[40:41] op_sel:[0,0,1] op_sel_hi:[1,0,0] neg_lo:[0,0,1] neg_hi:[0,0,1]
	v_mov_b32_e32 v44, v38
	v_mov_b32_e32 v45, v41
	v_pk_add_f32 v[46:47], v[44:45], v[42:43]
	v_pk_mul_f32 v[44:45], v[116:117], s[22:23] op_sel_hi:[1,0]
	s_mov_b32 s50, 0x3f06c442
	v_pk_fma_f32 v[42:43], v[110:111], s[20:21], v[44:45] op_sel:[0,0,1] op_sel_hi:[1,0,0]
	v_pk_fma_f32 v[44:45], v[110:111], s[20:21], v[44:45] op_sel:[0,0,1] op_sel_hi:[1,0,0] neg_lo:[0,0,1] neg_hi:[0,0,1]
	v_mov_b32_e32 v48, v42
	v_mov_b32_e32 v49, v45
	v_pk_add_f32 v[50:51], v[48:49], v[46:47]
	v_pk_mul_f32 v[48:49], v[108:109], s[36:37] op_sel_hi:[1,0]
	s_mov_b32 s48, 0x3f763a35
	;; [unrolled: 7-line block ×4, first 2 shown]
	v_pk_fma_f32 v[54:55], v[74:75], s[16:17], v[56:57] op_sel:[0,0,1] op_sel_hi:[1,0,0]
	v_pk_fma_f32 v[56:57], v[74:75], s[16:17], v[56:57] op_sel:[0,0,1] op_sel_hi:[1,0,0] neg_lo:[0,0,1] neg_hi:[0,0,1]
	v_mov_b32_e32 v60, v54
	v_mov_b32_e32 v61, v57
	v_pk_add_f32 v[62:63], v[60:61], v[58:59]
	v_pk_mul_f32 v[60:61], v[72:73], s[40:41] op_sel_hi:[1,0]
	v_pk_mul_f32 v[86:87], v[128:129], s[22:23] op_sel_hi:[1,0]
	v_pk_fma_f32 v[58:59], v[70:71], s[10:11], v[60:61] op_sel:[0,0,1] op_sel_hi:[1,0,0]
	v_pk_fma_f32 v[60:61], v[70:71], s[10:11], v[60:61] op_sel:[0,0,1] op_sel_hi:[1,0,0] neg_lo:[0,0,1] neg_hi:[0,0,1]
	v_mov_b32_e32 v64, v58
	v_mov_b32_e32 v65, v61
	v_pk_add_f32 v[82:83], v[64:65], v[62:63]
	v_pk_mul_f32 v[64:65], v[68:69], s[42:43] op_sel_hi:[1,0]
	v_pk_fma_f32 v[14:15], v[122:123], s[20:21], v[86:87] op_sel:[0,0,1] op_sel_hi:[1,0,0]
	v_pk_fma_f32 v[62:63], v[66:67], s[14:15], v[64:65] op_sel:[0,0,1] op_sel_hi:[1,0,0]
	v_pk_fma_f32 v[64:65], v[66:67], s[14:15], v[64:65] op_sel:[0,0,1] op_sel_hi:[1,0,0] neg_lo:[0,0,1] neg_hi:[0,0,1]
	v_mov_b32_e32 v84, v62
	v_mov_b32_e32 v85, v65
	v_pk_add_f32 v[82:83], v[84:85], v[82:83]
	v_pk_mul_f32 v[84:85], v[136:137], s[44:45] op_sel_hi:[1,0]
	v_pk_fma_f32 v[120:121], v[122:123], s[20:21], v[86:87] op_sel:[0,0,1] op_sel_hi:[1,0,0] neg_lo:[0,0,1] neg_hi:[0,0,1]
	v_pk_fma_f32 v[18:19], v[130:131], s[10:11], v[84:85] op_sel:[0,0,1] op_sel_hi:[1,0,0]
	v_pk_fma_f32 v[114:115], v[130:131], s[10:11], v[84:85] op_sel:[0,0,1] op_sel_hi:[1,0,0] neg_lo:[0,0,1] neg_hi:[0,0,1]
	v_mov_b32_e32 v84, v18
	v_mov_b32_e32 v85, v115
	v_pk_add_f32 v[84:85], v[0:1], v[84:85]
	v_mov_b32_e32 v86, v14
	v_mov_b32_e32 v87, v121
	s_mov_b32 s46, 0x3e3c28d5
	v_pk_add_f32 v[84:85], v[86:87], v[84:85]
	v_pk_mul_f32 v[86:87], v[116:117], s[46:47] op_sel_hi:[1,0]
	s_mov_b32 s46, 0x3f2c7751
	v_pk_fma_f32 v[124:125], v[110:111], s[30:31], v[86:87] op_sel:[0,0,1] op_sel_hi:[1,0,0]
	v_pk_fma_f32 v[126:127], v[110:111], s[30:31], v[86:87] op_sel:[0,0,1] op_sel_hi:[1,0,0] neg_lo:[0,0,1] neg_hi:[0,0,1]
	v_mov_b32_e32 v86, v124
	v_mov_b32_e32 v87, v127
	v_pk_add_f32 v[84:85], v[86:87], v[84:85]
	v_pk_mul_f32 v[86:87], v[108:109], s[48:49] op_sel_hi:[1,0]
	v_pk_mul_f32 v[88:89], v[128:129], s[36:37] op_sel_hi:[1,0]
	v_pk_fma_f32 v[132:133], v[106:107], s[16:17], v[86:87] op_sel:[0,0,1] op_sel_hi:[1,0,0]
	v_pk_fma_f32 v[134:135], v[106:107], s[16:17], v[86:87] op_sel:[0,0,1] op_sel_hi:[1,0,0] neg_lo:[0,0,1] neg_hi:[0,0,1]
	v_mov_b32_e32 v86, v132
	v_mov_b32_e32 v87, v135
	v_pk_add_f32 v[84:85], v[86:87], v[84:85]
	v_pk_mul_f32 v[86:87], v[104:105], s[46:47] op_sel_hi:[1,0]
	s_mov_b32 s52, 0x3f4c4adb
	v_pk_fma_f32 v[138:139], v[78:79], s[12:13], v[86:87] op_sel:[0,0,1] op_sel_hi:[1,0,0]
	v_pk_fma_f32 v[140:141], v[78:79], s[12:13], v[86:87] op_sel:[0,0,1] op_sel_hi:[1,0,0] neg_lo:[0,0,1] neg_hi:[0,0,1]
	v_mov_b32_e32 v86, v138
	v_mov_b32_e32 v87, v141
	v_pk_add_f32 v[84:85], v[86:87], v[84:85]
	v_pk_mul_f32 v[86:87], v[76:77], s[24:25] op_sel_hi:[1,0]
	v_pk_mul_f32 v[170:171], v[128:129], s[50:51] op_sel_hi:[1,0]
	v_pk_fma_f32 v[142:143], v[74:75], s[14:15], v[86:87] op_sel:[0,0,1] op_sel_hi:[1,0,0]
	v_pk_fma_f32 v[144:145], v[74:75], s[14:15], v[86:87] op_sel:[0,0,1] op_sel_hi:[1,0,0] neg_lo:[0,0,1] neg_hi:[0,0,1]
	v_mov_b32_e32 v86, v142
	v_mov_b32_e32 v87, v145
	v_pk_add_f32 v[84:85], v[86:87], v[84:85]
	v_pk_mul_f32 v[86:87], v[72:73], s[34:35] op_sel_hi:[1,0]
	v_pk_mul_f32 v[202:203], v[128:129], s[48:49] op_sel_hi:[1,0]
	v_pk_fma_f32 v[146:147], v[70:71], s[0:1], v[86:87] op_sel:[0,0,1] op_sel_hi:[1,0,0]
	v_pk_fma_f32 v[148:149], v[70:71], s[0:1], v[86:87] op_sel:[0,0,1] op_sel_hi:[1,0,0] neg_lo:[0,0,1] neg_hi:[0,0,1]
	v_mov_b32_e32 v86, v146
	v_mov_b32_e32 v87, v149
	v_pk_add_f32 v[84:85], v[86:87], v[84:85]
	v_pk_mul_f32 v[86:87], v[68:69], s[28:29] op_sel_hi:[1,0]
	v_pk_fma_f32 v[204:205], v[122:123], s[16:17], v[202:203] op_sel:[0,0,1] op_sel_hi:[1,0,0]
	v_pk_fma_f32 v[150:151], v[66:67], s[26:27], v[86:87] op_sel:[0,0,1] op_sel_hi:[1,0,0]
	v_pk_fma_f32 v[152:153], v[66:67], s[26:27], v[86:87] op_sel:[0,0,1] op_sel_hi:[1,0,0] neg_lo:[0,0,1] neg_hi:[0,0,1]
	v_mov_b32_e32 v86, v150
	v_mov_b32_e32 v87, v153
	v_pk_add_f32 v[84:85], v[86:87], v[84:85]
	ds_write2_b64 v80, v[82:83], v[84:85] offset0:100 offset1:150
	v_pk_mul_f32 v[84:85], v[136:137], s[34:35] op_sel_hi:[1,0]
	v_pk_fma_f32 v[202:203], v[122:123], s[16:17], v[202:203] op_sel:[0,0,1] op_sel_hi:[1,0,0] neg_lo:[0,0,1] neg_hi:[0,0,1]
	v_pk_fma_f32 v[82:83], v[130:131], s[0:1], v[84:85] op_sel:[0,0,1] op_sel_hi:[1,0,0]
	v_pk_fma_f32 v[84:85], v[130:131], s[0:1], v[84:85] op_sel:[0,0,1] op_sel_hi:[1,0,0] neg_lo:[0,0,1] neg_hi:[0,0,1]
	v_mov_b32_e32 v86, v82
	v_mov_b32_e32 v87, v85
	v_pk_add_f32 v[90:91], v[0:1], v[86:87]
	v_pk_fma_f32 v[86:87], v[122:123], s[30:31], v[88:89] op_sel:[0,0,1] op_sel_hi:[1,0,0]
	v_pk_fma_f32 v[88:89], v[122:123], s[30:31], v[88:89] op_sel:[0,0,1] op_sel_hi:[1,0,0] neg_lo:[0,0,1] neg_hi:[0,0,1]
	v_mov_b32_e32 v92, v86
	v_mov_b32_e32 v93, v89
	v_pk_add_f32 v[94:95], v[92:93], v[90:91]
	v_pk_mul_f32 v[92:93], v[116:117], s[48:49] op_sel_hi:[1,0]
	v_mov_b32_e32 v206, v204
	v_pk_fma_f32 v[90:91], v[110:111], s[16:17], v[92:93] op_sel:[0,0,1] op_sel_hi:[1,0,0]
	v_pk_fma_f32 v[92:93], v[110:111], s[16:17], v[92:93] op_sel:[0,0,1] op_sel_hi:[1,0,0] neg_lo:[0,0,1] neg_hi:[0,0,1]
	v_mov_b32_e32 v96, v90
	v_mov_b32_e32 v97, v93
	v_pk_add_f32 v[98:99], v[96:97], v[94:95]
	v_pk_mul_f32 v[96:97], v[108:109], s[42:43] op_sel_hi:[1,0]
	v_mov_b32_e32 v207, v203
	v_pk_fma_f32 v[94:95], v[106:107], s[14:15], v[96:97] op_sel:[0,0,1] op_sel_hi:[1,0,0]
	v_pk_fma_f32 v[96:97], v[106:107], s[14:15], v[96:97] op_sel:[0,0,1] op_sel_hi:[1,0,0] neg_lo:[0,0,1] neg_hi:[0,0,1]
	v_mov_b32_e32 v100, v94
	v_mov_b32_e32 v101, v97
	v_pk_add_f32 v[102:103], v[100:101], v[98:99]
	v_pk_mul_f32 v[100:101], v[104:105], s[44:45] op_sel_hi:[1,0]
	v_pk_mul_f32 v[236:237], v[128:129], s[40:41] op_sel_hi:[1,0]
	v_pk_fma_f32 v[98:99], v[78:79], s[10:11], v[100:101] op_sel:[0,0,1] op_sel_hi:[1,0,0]
	v_pk_fma_f32 v[100:101], v[78:79], s[10:11], v[100:101] op_sel:[0,0,1] op_sel_hi:[1,0,0] neg_lo:[0,0,1] neg_hi:[0,0,1]
	v_mov_b32_e32 v154, v98
	v_mov_b32_e32 v155, v101
	v_pk_add_f32 v[156:157], v[154:155], v[102:103]
	v_pk_mul_f32 v[154:155], v[76:77], s[28:29] op_sel_hi:[1,0]
	v_pk_fma_f32 v[238:239], v[122:123], s[10:11], v[236:237] op_sel:[0,0,1] op_sel_hi:[1,0,0]
	v_pk_fma_f32 v[102:103], v[74:75], s[26:27], v[154:155] op_sel:[0,0,1] op_sel_hi:[1,0,0]
	v_pk_fma_f32 v[154:155], v[74:75], s[26:27], v[154:155] op_sel:[0,0,1] op_sel_hi:[1,0,0] neg_lo:[0,0,1] neg_hi:[0,0,1]
	v_mov_b32_e32 v158, v102
	v_mov_b32_e32 v159, v155
	v_pk_add_f32 v[160:161], v[158:159], v[156:157]
	v_pk_mul_f32 v[158:159], v[72:73], s[52:53] op_sel_hi:[1,0]
	v_pk_fma_f32 v[236:237], v[122:123], s[10:11], v[236:237] op_sel:[0,0,1] op_sel_hi:[1,0,0] neg_lo:[0,0,1] neg_hi:[0,0,1]
	v_pk_fma_f32 v[156:157], v[70:71], s[20:21], v[158:159] op_sel:[0,0,1] op_sel_hi:[1,0,0]
	v_pk_fma_f32 v[158:159], v[70:71], s[20:21], v[158:159] op_sel:[0,0,1] op_sel_hi:[1,0,0] neg_lo:[0,0,1] neg_hi:[0,0,1]
	v_mov_b32_e32 v162, v156
	v_mov_b32_e32 v163, v159
	v_pk_add_f32 v[164:165], v[162:163], v[160:161]
	v_pk_mul_f32 v[162:163], v[68:69], s[46:47] op_sel_hi:[1,0]
	v_mov_b32_e32 v240, v238
	v_pk_fma_f32 v[160:161], v[66:67], s[12:13], v[162:163] op_sel:[0,0,1] op_sel_hi:[1,0,0]
	v_pk_fma_f32 v[162:163], v[66:67], s[12:13], v[162:163] op_sel:[0,0,1] op_sel_hi:[1,0,0] neg_lo:[0,0,1] neg_hi:[0,0,1]
	v_mov_b32_e32 v166, v160
	v_mov_b32_e32 v167, v163
	v_pk_add_f32 v[188:189], v[166:167], v[164:165]
	v_pk_mul_f32 v[166:167], v[136:137], s[18:19] op_sel_hi:[1,0]
	v_mov_b32_e32 v241, v237
	v_pk_fma_f32 v[164:165], v[130:131], s[16:17], v[166:167] op_sel:[0,0,1] op_sel_hi:[1,0,0]
	v_pk_fma_f32 v[166:167], v[130:131], s[16:17], v[166:167] op_sel:[0,0,1] op_sel_hi:[1,0,0] neg_lo:[0,0,1] neg_hi:[0,0,1]
	v_mov_b32_e32 v168, v164
	v_mov_b32_e32 v169, v167
	v_pk_add_f32 v[172:173], v[0:1], v[168:169]
	v_pk_fma_f32 v[168:169], v[122:123], s[26:27], v[170:171] op_sel:[0,0,1] op_sel_hi:[1,0,0]
	v_pk_fma_f32 v[170:171], v[122:123], s[26:27], v[170:171] op_sel:[0,0,1] op_sel_hi:[1,0,0] neg_lo:[0,0,1] neg_hi:[0,0,1]
	v_mov_b32_e32 v174, v168
	v_mov_b32_e32 v175, v171
	v_pk_add_f32 v[176:177], v[174:175], v[172:173]
	v_pk_mul_f32 v[174:175], v[116:117], s[46:47] op_sel_hi:[1,0]
	v_pk_mul_f32 v[128:129], v[128:129], s[42:43] op_sel_hi:[1,0]
	v_pk_fma_f32 v[172:173], v[110:111], s[12:13], v[174:175] op_sel:[0,0,1] op_sel_hi:[1,0,0]
	v_pk_fma_f32 v[174:175], v[110:111], s[12:13], v[174:175] op_sel:[0,0,1] op_sel_hi:[1,0,0] neg_lo:[0,0,1] neg_hi:[0,0,1]
	v_mov_b32_e32 v178, v172
	v_mov_b32_e32 v179, v175
	v_pk_add_f32 v[180:181], v[178:179], v[176:177]
	v_pk_mul_f32 v[178:179], v[108:109], s[44:45] op_sel_hi:[1,0]
	s_mov_b32 s44, 0x3f7ee86f
	v_pk_fma_f32 v[176:177], v[106:107], s[10:11], v[178:179] op_sel:[0,0,1] op_sel_hi:[1,0,0]
	v_pk_fma_f32 v[178:179], v[106:107], s[10:11], v[178:179] op_sel:[0,0,1] op_sel_hi:[1,0,0] neg_lo:[0,0,1] neg_hi:[0,0,1]
	v_mov_b32_e32 v182, v176
	v_mov_b32_e32 v183, v179
	v_pk_add_f32 v[184:185], v[182:183], v[180:181]
	v_pk_mul_f32 v[182:183], v[104:105], s[36:37] op_sel_hi:[1,0]
	v_mov_b32_e32 v237, v239
	v_pk_fma_f32 v[180:181], v[78:79], s[30:31], v[182:183] op_sel:[0,0,1] op_sel_hi:[1,0,0]
	v_pk_fma_f32 v[182:183], v[78:79], s[30:31], v[182:183] op_sel:[0,0,1] op_sel_hi:[1,0,0] neg_lo:[0,0,1] neg_hi:[0,0,1]
	v_mov_b32_e32 v186, v180
	v_mov_b32_e32 v187, v183
	v_pk_add_f32 v[190:191], v[186:187], v[184:185]
	v_pk_mul_f32 v[186:187], v[76:77], s[44:45] op_sel_hi:[1,0]
	v_mov_b32_e32 v203, v205
	;; [unrolled: 7-line block ×4, first 2 shown]
	v_pk_fma_f32 v[198:199], v[66:67], s[20:21], v[196:197] op_sel:[0,0,1] op_sel_hi:[1,0,0]
	v_pk_fma_f32 v[196:197], v[66:67], s[20:21], v[196:197] op_sel:[0,0,1] op_sel_hi:[1,0,0] neg_lo:[0,0,1] neg_hi:[0,0,1]
	v_mov_b32_e32 v200, v198
	v_mov_b32_e32 v201, v197
	v_pk_add_f32 v[190:191], v[200:201], v[190:191]
	ds_write2_b64 v80, v[188:189], v[190:191] offset0:200 offset1:250
	v_pk_mul_f32 v[188:189], v[136:137], s[22:23] op_sel_hi:[1,0]
	v_mov_b32_e32 v171, v169
	v_pk_fma_f32 v[190:191], v[130:131], s[20:21], v[188:189] op_sel:[0,0,1] op_sel_hi:[1,0,0]
	v_pk_fma_f32 v[188:189], v[130:131], s[20:21], v[188:189] op_sel:[0,0,1] op_sel_hi:[1,0,0] neg_lo:[0,0,1] neg_hi:[0,0,1]
	v_mov_b32_e32 v200, v190
	v_mov_b32_e32 v201, v189
	v_pk_add_f32 v[200:201], v[0:1], v[200:201]
	v_mov_b32_e32 v189, v191
	v_pk_add_f32 v[200:201], v[206:207], v[200:201]
	v_pk_mul_f32 v[206:207], v[116:117], s[24:25] op_sel_hi:[1,0]
	v_mov_b32_e32 v89, v87
	v_pk_fma_f32 v[208:209], v[110:111], s[14:15], v[206:207] op_sel:[0,0,1] op_sel_hi:[1,0,0]
	v_pk_fma_f32 v[206:207], v[110:111], s[14:15], v[206:207] op_sel:[0,0,1] op_sel_hi:[1,0,0] neg_lo:[0,0,1] neg_hi:[0,0,1]
	v_mov_b32_e32 v210, v208
	v_mov_b32_e32 v211, v207
	v_pk_add_f32 v[200:201], v[210:211], v[200:201]
	v_pk_mul_f32 v[210:211], v[108:109], s[28:29] op_sel_hi:[1,0]
	v_mov_b32_e32 v207, v209
	v_pk_fma_f32 v[212:213], v[106:107], s[26:27], v[210:211] op_sel:[0,0,1] op_sel_hi:[1,0,0]
	v_pk_fma_f32 v[210:211], v[106:107], s[26:27], v[210:211] op_sel:[0,0,1] op_sel_hi:[1,0,0] neg_lo:[0,0,1] neg_hi:[0,0,1]
	v_mov_b32_e32 v214, v212
	v_mov_b32_e32 v215, v211
	v_pk_add_f32 v[200:201], v[214:215], v[200:201]
	v_pk_mul_f32 v[214:215], v[104:105], s[44:45] op_sel_hi:[1,0]
	v_mov_b32_e32 v211, v213
	v_pk_fma_f32 v[216:217], v[78:79], s[0:1], v[214:215] op_sel:[0,0,1] op_sel_hi:[1,0,0]
	v_pk_fma_f32 v[214:215], v[78:79], s[0:1], v[214:215] op_sel:[0,0,1] op_sel_hi:[1,0,0] neg_lo:[0,0,1] neg_hi:[0,0,1]
	v_mov_b32_e32 v218, v216
	v_mov_b32_e32 v219, v215
	v_pk_add_f32 v[200:201], v[218:219], v[200:201]
	v_pk_mul_f32 v[218:219], v[76:77], s[38:39] op_sel_hi:[1,0]
	v_mov_b32_e32 v215, v217
	v_pk_fma_f32 v[220:221], v[74:75], s[12:13], v[218:219] op_sel:[0,0,1] op_sel_hi:[1,0,0]
	v_pk_fma_f32 v[218:219], v[74:75], s[12:13], v[218:219] op_sel:[0,0,1] op_sel_hi:[1,0,0] neg_lo:[0,0,1] neg_hi:[0,0,1]
	v_mov_b32_e32 v222, v220
	v_mov_b32_e32 v223, v219
	v_pk_add_f32 v[200:201], v[222:223], v[200:201]
	v_pk_mul_f32 v[222:223], v[72:73], s[36:37] op_sel_hi:[1,0]
	v_mov_b32_e32 v219, v221
	v_pk_fma_f32 v[224:225], v[70:71], s[30:31], v[222:223] op_sel:[0,0,1] op_sel_hi:[1,0,0]
	v_pk_fma_f32 v[222:223], v[70:71], s[30:31], v[222:223] op_sel:[0,0,1] op_sel_hi:[1,0,0] neg_lo:[0,0,1] neg_hi:[0,0,1]
	v_mov_b32_e32 v226, v224
	v_mov_b32_e32 v227, v223
	v_pk_add_f32 v[200:201], v[226:227], v[200:201]
	v_pk_mul_f32 v[226:227], v[68:69], s[40:41] op_sel_hi:[1,0]
	v_mov_b32_e32 v223, v225
	v_pk_fma_f32 v[228:229], v[66:67], s[10:11], v[226:227] op_sel:[0,0,1] op_sel_hi:[1,0,0]
	v_pk_fma_f32 v[226:227], v[66:67], s[10:11], v[226:227] op_sel:[0,0,1] op_sel_hi:[1,0,0] neg_lo:[0,0,1] neg_hi:[0,0,1]
	v_mov_b32_e32 v230, v228
	v_mov_b32_e32 v231, v227
	v_pk_add_f32 v[200:201], v[230:231], v[200:201]
	v_pk_mul_f32 v[230:231], v[136:137], s[28:29] op_sel_hi:[1,0]
	v_mov_b32_e32 v227, v229
	v_pk_fma_f32 v[232:233], v[130:131], s[26:27], v[230:231] op_sel:[0,0,1] op_sel_hi:[1,0,0]
	v_pk_fma_f32 v[230:231], v[130:131], s[26:27], v[230:231] op_sel:[0,0,1] op_sel_hi:[1,0,0] neg_lo:[0,0,1] neg_hi:[0,0,1]
	v_mov_b32_e32 v234, v232
	v_mov_b32_e32 v235, v231
	v_pk_add_f32 v[234:235], v[0:1], v[234:235]
	v_mov_b32_e32 v231, v233
	v_pk_add_f32 v[234:235], v[240:241], v[234:235]
	v_pk_mul_f32 v[240:241], v[116:117], s[34:35] op_sel_hi:[1,0]
	v_pk_mul_f32 v[116:117], v[116:117], s[28:29] op_sel_hi:[1,0]
	v_pk_fma_f32 v[242:243], v[110:111], s[0:1], v[240:241] op_sel:[0,0,1] op_sel_hi:[1,0,0]
	v_pk_fma_f32 v[240:241], v[110:111], s[0:1], v[240:241] op_sel:[0,0,1] op_sel_hi:[1,0,0] neg_lo:[0,0,1] neg_hi:[0,0,1]
	v_mov_b32_e32 v244, v242
	v_mov_b32_e32 v245, v241
	v_pk_add_f32 v[234:235], v[244:245], v[234:235]
	v_pk_mul_f32 v[244:245], v[108:109], s[52:53] op_sel_hi:[1,0]
	v_pk_mul_f32 v[108:109], v[108:109], s[46:47] op_sel_hi:[1,0]
	v_pk_fma_f32 v[246:247], v[106:107], s[20:21], v[244:245] op_sel:[0,0,1] op_sel_hi:[1,0,0]
	v_pk_fma_f32 v[244:245], v[106:107], s[20:21], v[244:245] op_sel:[0,0,1] op_sel_hi:[1,0,0] neg_lo:[0,0,1] neg_hi:[0,0,1]
	v_mov_b32_e32 v248, v246
	;; [unrolled: 7-line block ×6, first 2 shown]
	v_mov_b32_e32 v5, v235
	v_pk_add_f32 v[2:3], v[4:5], v[2:3]
	v_add_u32_e32 v6, 0x800, v80
	ds_write2_b64 v6, v[200:201], v[2:3] offset0:44 offset1:94
	v_pk_mul_f32 v[2:3], v[136:137], s[36:37] op_sel_hi:[1,0]
	v_mov_b32_e32 v241, v243
	v_pk_fma_f32 v[4:5], v[130:131], s[30:31], v[2:3] op_sel:[0,0,1] op_sel_hi:[1,0,0]
	v_pk_fma_f32 v[2:3], v[130:131], s[30:31], v[2:3] op_sel:[0,0,1] op_sel_hi:[1,0,0] neg_lo:[0,0,1] neg_hi:[0,0,1]
	v_pk_fma_f32 v[130:131], v[122:123], s[14:15], v[128:129] op_sel:[0,0,1] op_sel_hi:[1,0,0]
	v_pk_fma_f32 v[122:123], v[122:123], s[14:15], v[128:129] op_sel:[0,0,1] op_sel_hi:[1,0,0] neg_lo:[0,0,1] neg_hi:[0,0,1]
	v_mov_b32_e32 v128, v4
	v_mov_b32_e32 v129, v3
	v_pk_add_f32 v[128:129], v[0:1], v[128:129]
	v_mov_b32_e32 v136, v130
	v_mov_b32_e32 v137, v123
	v_pk_add_f32 v[128:129], v[136:137], v[128:129]
	v_pk_fma_f32 v[136:137], v[110:111], s[26:27], v[116:117] op_sel:[0,0,1] op_sel_hi:[1,0,0]
	v_pk_fma_f32 v[110:111], v[110:111], s[26:27], v[116:117] op_sel:[0,0,1] op_sel_hi:[1,0,0] neg_lo:[0,0,1] neg_hi:[0,0,1]
	v_mov_b32_e32 v116, v136
	v_mov_b32_e32 v117, v111
	v_pk_add_f32 v[116:117], v[116:117], v[128:129]
	v_pk_fma_f32 v[128:129], v[106:107], s[12:13], v[108:109] op_sel:[0,0,1] op_sel_hi:[1,0,0]
	v_pk_fma_f32 v[106:107], v[106:107], s[12:13], v[108:109] op_sel:[0,0,1] op_sel_hi:[1,0,0] neg_lo:[0,0,1] neg_hi:[0,0,1]
	;; [unrolled: 5-line block ×3, first 2 shown]
	v_mov_b32_e32 v3, v5
	v_mov_b32_e32 v104, v116
	;; [unrolled: 1-line block ×4, first 2 shown]
	v_pk_add_f32 v[2:3], v[0:1], v[2:3]
	v_pk_add_f32 v[104:105], v[104:105], v[108:109]
	v_pk_fma_f32 v[108:109], v[74:75], s[10:11], v[76:77] op_sel:[0,0,1] op_sel_hi:[1,0,0]
	v_pk_fma_f32 v[74:75], v[74:75], s[10:11], v[76:77] op_sel:[0,0,1] op_sel_hi:[1,0,0] neg_lo:[0,0,1] neg_hi:[0,0,1]
	v_pk_add_f32 v[2:3], v[122:123], v[2:3]
	v_mov_b32_e32 v111, v137
	v_mov_b32_e32 v76, v108
	v_mov_b32_e32 v77, v75
	v_pk_add_f32 v[2:3], v[110:111], v[2:3]
	v_mov_b32_e32 v107, v129
	v_pk_add_f32 v[76:77], v[76:77], v[104:105]
	v_pk_fma_f32 v[104:105], v[70:71], s[16:17], v[72:73] op_sel:[0,0,1] op_sel_hi:[1,0,0]
	v_pk_fma_f32 v[70:71], v[70:71], s[16:17], v[72:73] op_sel:[0,0,1] op_sel_hi:[1,0,0] neg_lo:[0,0,1] neg_hi:[0,0,1]
	v_pk_add_f32 v[2:3], v[106:107], v[2:3]
	v_mov_b32_e32 v79, v117
	v_mov_b32_e32 v72, v104
	v_mov_b32_e32 v73, v71
	v_pk_add_f32 v[2:3], v[78:79], v[2:3]
	v_mov_b32_e32 v75, v109
	;; [unrolled: 9-line block ×3, first 2 shown]
	v_pk_add_f32 v[68:69], v[68:69], v[72:73]
	v_pk_add_f32 v[2:3], v[66:67], v[2:3]
	ds_write2_b64 v6, v[68:69], v[2:3] offset0:144 offset1:194
	v_pk_add_f32 v[2:3], v[0:1], v[230:231]
	v_pk_add_f32 v[4:5], v[0:1], v[188:189]
	;; [unrolled: 1-line block ×5, first 2 shown]
	v_mov_b32_e32 v245, v247
	v_pk_add_f32 v[4:5], v[206:207], v[4:5]
	v_pk_add_f32 v[2:3], v[244:245], v[2:3]
	v_mov_b32_e32 v249, v251
	v_pk_add_f32 v[4:5], v[210:211], v[4:5]
	v_pk_add_f32 v[2:3], v[248:249], v[2:3]
	;; [unrolled: 3-line block ×5, first 2 shown]
	v_pk_add_f32 v[4:5], v[226:227], v[4:5]
	v_add_u32_e32 v6, 0xc00, v80
	ds_write2_b64 v6, v[2:3], v[4:5] offset0:116 offset1:166
	v_pk_add_f32 v[2:3], v[0:1], v[166:167]
	v_pk_add_f32 v[4:5], v[0:1], v[84:85]
	;; [unrolled: 1-line block ×3, first 2 shown]
	v_mov_b32_e32 v175, v173
	v_pk_add_f32 v[4:5], v[88:89], v[4:5]
	v_mov_b32_e32 v93, v91
	v_pk_add_f32 v[2:3], v[174:175], v[2:3]
	;; [unrolled: 2-line block ×12, first 2 shown]
	v_pk_add_f32 v[4:5], v[162:163], v[4:5]
	v_add_u32_e32 v6, 0x1000, v80
	v_mov_b32_e32 v115, v19
	v_mov_b32_e32 v37, v35
	v_mov_b32_e32 v119, v81
	ds_write2_b64 v6, v[2:3], v[4:5] offset0:88 offset1:138
	v_pk_add_f32 v[2:3], v[0:1], v[114:115]
	v_mov_b32_e32 v121, v15
	v_pk_add_f32 v[4:5], v[0:1], v[36:37]
	v_mov_b32_e32 v41, v39
	v_pk_add_f32 v[0:1], v[0:1], v[118:119]
	v_accvgpr_read_b32 v113, a23
	v_pk_add_f32 v[2:3], v[120:121], v[2:3]
	v_mov_b32_e32 v127, v125
	v_pk_add_f32 v[4:5], v[40:41], v[4:5]
	v_mov_b32_e32 v45, v43
	v_pk_add_f32 v[0:1], v[112:113], v[0:1]
	v_accvgpr_read_b32 v13, a25
	;; [unrolled: 6-line block ×4, first 2 shown]
	v_pk_add_f32 v[2:3], v[140:141], v[2:3]
	v_mov_b32_e32 v145, v143
	v_pk_add_f32 v[4:5], v[52:53], v[4:5]
	v_mov_b32_e32 v57, v55
	;; [unrolled: 2-line block ×9, first 2 shown]
	v_pk_add_f32 v[2:3], v[152:153], v[2:3]
	v_pk_add_f32 v[4:5], v[64:65], v[4:5]
	;; [unrolled: 1-line block ×3, first 2 shown]
	ds_write2_b64 v6, v[2:3], v[4:5] offset0:188 offset1:238
	ds_write_b64 v80, v[0:1] offset:6400
.LBB0_9:
	s_or_b64 exec, exec, s[8:9]
	s_waitcnt lgkmcnt(5)
	v_accvgpr_read_b32 v10, a8
	s_waitcnt lgkmcnt(0)
	s_barrier
	ds_read2_b64 v[0:3], v80 offset1:85
	v_mad_u64_u32 v[6:7], s[0:1], s6, v10, 0
	v_mov_b32_e32 v8, v7
	v_mad_u64_u32 v[8:9], s[0:1], s7, v10, v[8:9]
	v_accvgpr_read_b32 v10, a20
	v_accvgpr_read_b32 v11, a21
	v_mov_b32_e32 v7, v8
	s_waitcnt lgkmcnt(0)
	v_mul_f32_e32 v8, v11, v1
	v_fmac_f32_e32 v8, v10, v0
	v_mul_f32_e32 v0, v11, v0
	s_mov_b32 s0, 0xace01346
	v_fma_f32 v0, v10, v1, -v0
	v_cvt_f64_f32_e32 v[8:9], v8
	s_mov_b32 s1, 0x3f534679
	v_cvt_f64_f32_e32 v[0:1], v0
	v_mul_f64 v[8:9], v[8:9], s[0:1]
	v_mul_f64 v[0:1], v[0:1], s[0:1]
	v_accvgpr_read_b32 v11, a9
	v_mov_b32_e32 v4, s2
	v_mov_b32_e32 v5, s3
	v_cvt_f32_f64_e32 v8, v[8:9]
	v_cvt_f32_f64_e32 v9, v[0:1]
	v_mad_u64_u32 v[0:1], s[2:3], s4, v11, 0
	v_mov_b32_e32 v10, v1
	v_mad_u64_u32 v[10:11], s[2:3], s5, v11, v[10:11]
	v_mov_b32_e32 v1, v10
	v_lshl_add_u64 v[4:5], v[6:7], 3, v[4:5]
	v_lshl_add_u64 v[4:5], v[0:1], 3, v[4:5]
	global_store_dwordx2 v[4:5], v[8:9], off
	v_accvgpr_read_b32 v8, a18
	v_accvgpr_read_b32 v9, a19
	v_mul_f32_e32 v0, v9, v3
	v_fmac_f32_e32 v0, v8, v2
	v_cvt_f64_f32_e32 v[0:1], v0
	v_mul_f64 v[0:1], v[0:1], s[0:1]
	v_cvt_f32_f64_e32 v6, v[0:1]
	v_mul_f32_e32 v0, v9, v2
	v_fma_f32 v0, v8, v3, -v0
	v_cvt_f64_f32_e32 v[0:1], v0
	v_mul_f64 v[0:1], v[0:1], s[0:1]
	v_cvt_f32_f64_e32 v7, v[0:1]
	ds_read2_b64 v[0:3], v80 offset0:170 offset1:255
	v_mov_b32_e32 v8, 0x2a8
	v_mad_u64_u32 v[4:5], s[2:3], s4, v8, v[4:5]
	s_mulk_i32 s5, 0x2a8
	v_accvgpr_read_b32 v10, a14
	v_add_u32_e32 v5, s5, v5
	v_accvgpr_read_b32 v11, a15
	global_store_dwordx2 v[4:5], v[6:7], off
	s_waitcnt lgkmcnt(0)
	v_mul_f32_e32 v6, v11, v1
	v_fmac_f32_e32 v6, v10, v0
	v_mul_f32_e32 v0, v11, v0
	v_fma_f32 v0, v10, v1, -v0
	v_cvt_f64_f32_e32 v[6:7], v6
	v_cvt_f64_f32_e32 v[0:1], v0
	v_accvgpr_read_b32 v10, a10
	v_mul_f64 v[6:7], v[6:7], s[0:1]
	v_mul_f64 v[0:1], v[0:1], s[0:1]
	v_accvgpr_read_b32 v11, a11
	v_cvt_f32_f64_e32 v6, v[6:7]
	v_cvt_f32_f64_e32 v7, v[0:1]
	v_mul_f32_e32 v0, v11, v3
	v_fmac_f32_e32 v0, v10, v2
	v_mad_u64_u32 v[4:5], s[2:3], s4, v8, v[4:5]
	v_cvt_f64_f32_e32 v[0:1], v0
	v_add_u32_e32 v5, s5, v5
	v_mul_f64 v[0:1], v[0:1], s[0:1]
	global_store_dwordx2 v[4:5], v[6:7], off
	v_cvt_f32_f64_e32 v6, v[0:1]
	v_mul_f32_e32 v0, v11, v2
	v_fma_f32 v0, v10, v3, -v0
	v_cvt_f64_f32_e32 v[0:1], v0
	v_mul_f64 v[0:1], v[0:1], s[0:1]
	v_cvt_f32_f64_e32 v7, v[0:1]
	v_add_u32_e32 v0, 0x800, v80
	ds_read2_b64 v[0:3], v0 offset0:84 offset1:169
	v_mad_u64_u32 v[4:5], s[2:3], s4, v8, v[4:5]
	v_accvgpr_read_b32 v10, a16
	v_add_u32_e32 v5, s5, v5
	v_accvgpr_read_b32 v11, a17
	global_store_dwordx2 v[4:5], v[6:7], off
	s_waitcnt lgkmcnt(0)
	v_mul_f32_e32 v6, v11, v1
	v_fmac_f32_e32 v6, v10, v0
	v_mul_f32_e32 v0, v11, v0
	v_fma_f32 v0, v10, v1, -v0
	v_cvt_f64_f32_e32 v[6:7], v6
	v_cvt_f64_f32_e32 v[0:1], v0
	v_accvgpr_read_b32 v10, a12
	v_mul_f64 v[6:7], v[6:7], s[0:1]
	v_mul_f64 v[0:1], v[0:1], s[0:1]
	v_accvgpr_read_b32 v11, a13
	v_cvt_f32_f64_e32 v6, v[6:7]
	v_cvt_f32_f64_e32 v7, v[0:1]
	v_mul_f32_e32 v0, v11, v3
	v_fmac_f32_e32 v0, v10, v2
	v_mad_u64_u32 v[4:5], s[2:3], s4, v8, v[4:5]
	v_cvt_f64_f32_e32 v[0:1], v0
	v_add_u32_e32 v5, s5, v5
	v_mul_f64 v[0:1], v[0:1], s[0:1]
	global_store_dwordx2 v[4:5], v[6:7], off
	v_cvt_f32_f64_e32 v6, v[0:1]
	v_mul_f32_e32 v0, v11, v2
	v_fma_f32 v0, v10, v3, -v0
	v_cvt_f64_f32_e32 v[0:1], v0
	v_mul_f64 v[0:1], v[0:1], s[0:1]
	v_cvt_f32_f64_e32 v7, v[0:1]
	v_add_u32_e32 v0, 0xc00, v80
	ds_read2_b64 v[0:3], v0 offset0:126 offset1:211
	v_mad_u64_u32 v[4:5], s[2:3], s4, v8, v[4:5]
	v_add_u32_e32 v5, s5, v5
	v_accvgpr_read_b32 v11, a5
	global_store_dwordx2 v[4:5], v[6:7], off
	v_accvgpr_read_b32 v10, a4
	s_waitcnt lgkmcnt(0)
	v_mul_f32_e32 v6, v11, v1
	v_fmac_f32_e32 v6, v10, v0
	v_mul_f32_e32 v0, v11, v0
	v_fma_f32 v0, v10, v1, -v0
	v_cvt_f64_f32_e32 v[6:7], v6
	v_cvt_f64_f32_e32 v[0:1], v0
	v_mul_f64 v[6:7], v[6:7], s[0:1]
	v_mul_f64 v[0:1], v[0:1], s[0:1]
	v_accvgpr_read_b32 v11, a7
	v_cvt_f32_f64_e32 v6, v[6:7]
	v_cvt_f32_f64_e32 v7, v[0:1]
	v_accvgpr_read_b32 v10, a6
	v_mul_f32_e32 v0, v11, v3
	v_fmac_f32_e32 v0, v10, v2
	v_mad_u64_u32 v[4:5], s[2:3], s4, v8, v[4:5]
	v_cvt_f64_f32_e32 v[0:1], v0
	v_add_u32_e32 v5, s5, v5
	v_mul_f64 v[0:1], v[0:1], s[0:1]
	global_store_dwordx2 v[4:5], v[6:7], off
	v_cvt_f32_f64_e32 v6, v[0:1]
	v_mul_f32_e32 v0, v11, v2
	v_fma_f32 v0, v10, v3, -v0
	v_cvt_f64_f32_e32 v[0:1], v0
	v_mul_f64 v[0:1], v[0:1], s[0:1]
	v_cvt_f32_f64_e32 v7, v[0:1]
	v_add_u32_e32 v0, 0x1000, v80
	ds_read2_b64 v[0:3], v0 offset0:168 offset1:253
	v_mad_u64_u32 v[4:5], s[2:3], s4, v8, v[4:5]
	v_add_u32_e32 v5, s5, v5
	v_accvgpr_read_b32 v11, a3
	global_store_dwordx2 v[4:5], v[6:7], off
	v_accvgpr_read_b32 v10, a2
	s_waitcnt lgkmcnt(0)
	v_mul_f32_e32 v6, v11, v1
	v_fmac_f32_e32 v6, v10, v0
	v_mul_f32_e32 v0, v11, v0
	v_fma_f32 v0, v10, v1, -v0
	v_cvt_f64_f32_e32 v[6:7], v6
	v_cvt_f64_f32_e32 v[0:1], v0
	v_mul_f64 v[6:7], v[6:7], s[0:1]
	v_mul_f64 v[0:1], v[0:1], s[0:1]
	v_cvt_f32_f64_e32 v6, v[6:7]
	v_cvt_f32_f64_e32 v7, v[0:1]
	v_mad_u64_u32 v[0:1], s[2:3], s4, v8, v[4:5]
	v_add_u32_e32 v1, s5, v1
	global_store_dwordx2 v[0:1], v[6:7], off
	v_accvgpr_read_b32 v7, a1
	v_accvgpr_read_b32 v6, a0
	v_mul_f32_e32 v4, v7, v3
	v_fmac_f32_e32 v4, v6, v2
	v_mul_f32_e32 v2, v7, v2
	v_fma_f32 v2, v6, v3, -v2
	v_cvt_f64_f32_e32 v[4:5], v4
	v_cvt_f64_f32_e32 v[2:3], v2
	v_mul_f64 v[4:5], v[4:5], s[0:1]
	v_mul_f64 v[2:3], v[2:3], s[0:1]
	v_mad_u64_u32 v[0:1], s[0:1], s4, v8, v[0:1]
	v_cvt_f32_f64_e32 v4, v[4:5]
	v_cvt_f32_f64_e32 v5, v[2:3]
	v_add_u32_e32 v1, s5, v1
	global_store_dwordx2 v[0:1], v[4:5], off
.LBB0_10:
	s_endpgm
	.section	.rodata,"a",@progbits
	.p2align	6, 0x0
	.amdhsa_kernel bluestein_single_fwd_len850_dim1_sp_op_CI_CI
		.amdhsa_group_segment_fixed_size 6800
		.amdhsa_private_segment_fixed_size 0
		.amdhsa_kernarg_size 104
		.amdhsa_user_sgpr_count 2
		.amdhsa_user_sgpr_dispatch_ptr 0
		.amdhsa_user_sgpr_queue_ptr 0
		.amdhsa_user_sgpr_kernarg_segment_ptr 1
		.amdhsa_user_sgpr_dispatch_id 0
		.amdhsa_user_sgpr_kernarg_preload_length 0
		.amdhsa_user_sgpr_kernarg_preload_offset 0
		.amdhsa_user_sgpr_private_segment_size 0
		.amdhsa_uses_dynamic_stack 0
		.amdhsa_enable_private_segment 0
		.amdhsa_system_sgpr_workgroup_id_x 1
		.amdhsa_system_sgpr_workgroup_id_y 0
		.amdhsa_system_sgpr_workgroup_id_z 0
		.amdhsa_system_sgpr_workgroup_info 0
		.amdhsa_system_vgpr_workitem_id 0
		.amdhsa_next_free_vgpr 380
		.amdhsa_next_free_sgpr 56
		.amdhsa_accum_offset 256
		.amdhsa_reserve_vcc 1
		.amdhsa_float_round_mode_32 0
		.amdhsa_float_round_mode_16_64 0
		.amdhsa_float_denorm_mode_32 3
		.amdhsa_float_denorm_mode_16_64 3
		.amdhsa_dx10_clamp 1
		.amdhsa_ieee_mode 1
		.amdhsa_fp16_overflow 0
		.amdhsa_tg_split 0
		.amdhsa_exception_fp_ieee_invalid_op 0
		.amdhsa_exception_fp_denorm_src 0
		.amdhsa_exception_fp_ieee_div_zero 0
		.amdhsa_exception_fp_ieee_overflow 0
		.amdhsa_exception_fp_ieee_underflow 0
		.amdhsa_exception_fp_ieee_inexact 0
		.amdhsa_exception_int_div_zero 0
	.end_amdhsa_kernel
	.text
.Lfunc_end0:
	.size	bluestein_single_fwd_len850_dim1_sp_op_CI_CI, .Lfunc_end0-bluestein_single_fwd_len850_dim1_sp_op_CI_CI
                                        ; -- End function
	.section	.AMDGPU.csdata,"",@progbits
; Kernel info:
; codeLenInByte = 16408
; NumSgprs: 62
; NumVgprs: 256
; NumAgprs: 124
; TotalNumVgprs: 380
; ScratchSize: 0
; MemoryBound: 0
; FloatMode: 240
; IeeeMode: 1
; LDSByteSize: 6800 bytes/workgroup (compile time only)
; SGPRBlocks: 7
; VGPRBlocks: 47
; NumSGPRsForWavesPerEU: 62
; NumVGPRsForWavesPerEU: 380
; AccumOffset: 256
; Occupancy: 1
; WaveLimiterHint : 1
; COMPUTE_PGM_RSRC2:SCRATCH_EN: 0
; COMPUTE_PGM_RSRC2:USER_SGPR: 2
; COMPUTE_PGM_RSRC2:TRAP_HANDLER: 0
; COMPUTE_PGM_RSRC2:TGID_X_EN: 1
; COMPUTE_PGM_RSRC2:TGID_Y_EN: 0
; COMPUTE_PGM_RSRC2:TGID_Z_EN: 0
; COMPUTE_PGM_RSRC2:TIDIG_COMP_CNT: 0
; COMPUTE_PGM_RSRC3_GFX90A:ACCUM_OFFSET: 63
; COMPUTE_PGM_RSRC3_GFX90A:TG_SPLIT: 0
	.text
	.p2alignl 6, 3212836864
	.fill 256, 4, 3212836864
	.type	__hip_cuid_45c313d38e7bb64d,@object ; @__hip_cuid_45c313d38e7bb64d
	.section	.bss,"aw",@nobits
	.globl	__hip_cuid_45c313d38e7bb64d
__hip_cuid_45c313d38e7bb64d:
	.byte	0                               ; 0x0
	.size	__hip_cuid_45c313d38e7bb64d, 1

	.ident	"AMD clang version 19.0.0git (https://github.com/RadeonOpenCompute/llvm-project roc-6.4.0 25133 c7fe45cf4b819c5991fe208aaa96edf142730f1d)"
	.section	".note.GNU-stack","",@progbits
	.addrsig
	.addrsig_sym __hip_cuid_45c313d38e7bb64d
	.amdgpu_metadata
---
amdhsa.kernels:
  - .agpr_count:     124
    .args:
      - .actual_access:  read_only
        .address_space:  global
        .offset:         0
        .size:           8
        .value_kind:     global_buffer
      - .actual_access:  read_only
        .address_space:  global
        .offset:         8
        .size:           8
        .value_kind:     global_buffer
      - .actual_access:  read_only
        .address_space:  global
        .offset:         16
        .size:           8
        .value_kind:     global_buffer
      - .actual_access:  read_only
        .address_space:  global
        .offset:         24
        .size:           8
        .value_kind:     global_buffer
      - .actual_access:  read_only
        .address_space:  global
        .offset:         32
        .size:           8
        .value_kind:     global_buffer
      - .offset:         40
        .size:           8
        .value_kind:     by_value
      - .address_space:  global
        .offset:         48
        .size:           8
        .value_kind:     global_buffer
      - .address_space:  global
        .offset:         56
        .size:           8
        .value_kind:     global_buffer
      - .address_space:  global
        .offset:         64
        .size:           8
        .value_kind:     global_buffer
      - .address_space:  global
        .offset:         72
        .size:           8
        .value_kind:     global_buffer
      - .offset:         80
        .size:           4
        .value_kind:     by_value
      - .address_space:  global
        .offset:         88
        .size:           8
        .value_kind:     global_buffer
      - .address_space:  global
        .offset:         96
        .size:           8
        .value_kind:     global_buffer
    .group_segment_fixed_size: 6800
    .kernarg_segment_align: 8
    .kernarg_segment_size: 104
    .language:       OpenCL C
    .language_version:
      - 2
      - 0
    .max_flat_workgroup_size: 85
    .name:           bluestein_single_fwd_len850_dim1_sp_op_CI_CI
    .private_segment_fixed_size: 0
    .sgpr_count:     62
    .sgpr_spill_count: 0
    .symbol:         bluestein_single_fwd_len850_dim1_sp_op_CI_CI.kd
    .uniform_work_group_size: 1
    .uses_dynamic_stack: false
    .vgpr_count:     380
    .vgpr_spill_count: 0
    .wavefront_size: 64
amdhsa.target:   amdgcn-amd-amdhsa--gfx950
amdhsa.version:
  - 1
  - 2
...

	.end_amdgpu_metadata
